;; amdgpu-corpus repo=ROCm/rocFFT kind=compiled arch=gfx950 opt=O3
	.text
	.amdgcn_target "amdgcn-amd-amdhsa--gfx950"
	.amdhsa_code_object_version 6
	.protected	bluestein_single_back_len715_dim1_dp_op_CI_CI ; -- Begin function bluestein_single_back_len715_dim1_dp_op_CI_CI
	.globl	bluestein_single_back_len715_dim1_dp_op_CI_CI
	.p2align	8
	.type	bluestein_single_back_len715_dim1_dp_op_CI_CI,@function
bluestein_single_back_len715_dim1_dp_op_CI_CI: ; @bluestein_single_back_len715_dim1_dp_op_CI_CI
; %bb.0:
	s_load_dwordx4 s[4:7], s[0:1], 0x28
	v_mul_u32_u24_e32 v1, 0x3f1, v0
	v_lshrrev_b32_e32 v2, 16, v1
	v_mad_u64_u32 v[210:211], s[2:3], s2, 3, v[2:3]
	v_mov_b32_e32 v211, 0
	s_waitcnt lgkmcnt(0)
	v_cmp_gt_u64_e32 vcc, s[4:5], v[210:211]
	s_and_saveexec_b64 s[2:3], vcc
	s_cbranch_execz .LBB0_23
; %bb.1:
	v_mul_lo_u16_e32 v1, 0x41, v2
	s_mov_b32 s2, 0xaaaaaaab
	v_sub_u16_e32 v214, v0, v1
	v_mul_hi_u32 v0, v210, s2
	s_load_dwordx2 s[12:13], s[0:1], 0x0
	s_load_dwordx2 s[14:15], s[0:1], 0x38
	v_lshrrev_b32_e32 v0, 1, v0
	v_lshl_add_u32 v0, v0, 1, v0
	v_sub_u32_e32 v0, v210, v0
	v_mul_u32_u24_e32 v218, 0x2cb, v0
	v_cmp_gt_u16_e64 s[4:5], 55, v214
	v_lshlrev_b32_e32 v220, 4, v214
	v_lshlrev_b32_e32 v219, 4, v218
	s_and_saveexec_b64 s[2:3], s[4:5]
	s_cbranch_execz .LBB0_3
; %bb.2:
	s_load_dwordx2 s[8:9], s[0:1], 0x18
	v_mov_b32_e32 v0, s6
	v_mov_b32_e32 v1, s7
	;; [unrolled: 1-line block ×4, first 2 shown]
	s_waitcnt lgkmcnt(0)
	s_load_dwordx4 s[8:11], s[8:9], 0x0
	v_lshl_add_u64 v[40:41], s[12:13], 0, v[220:221]
	s_waitcnt lgkmcnt(0)
	v_mad_u64_u32 v[2:3], s[6:7], s10, v210, 0
	v_mad_u64_u32 v[4:5], s[6:7], s8, v214, 0
	v_mov_b32_e32 v6, v3
	v_mov_b32_e32 v8, v5
	v_mad_u64_u32 v[6:7], s[6:7], s11, v210, v[6:7]
	v_mov_b32_e32 v3, v6
	v_mad_u64_u32 v[6:7], s[6:7], s9, v214, v[8:9]
	v_mov_b32_e32 v5, v6
	v_lshl_add_u64 v[0:1], v[2:3], 4, v[0:1]
	v_lshl_add_u64 v[4:5], v[4:5], 4, v[0:1]
	v_mad_u64_u32 v[20:21], s[6:7], s8, v100, v[4:5]
	s_mul_i32 s6, s9, 0x370
	s_nop 0
	v_add_u32_e32 v21, s6, v21
	global_load_dwordx4 v[0:3], v[4:5], off
	v_mad_u64_u32 v[22:23], s[10:11], s8, v100, v[20:21]
	global_load_dwordx4 v[4:7], v220, s[12:13]
	global_load_dwordx4 v[8:11], v220, s[12:13] offset:880
	v_add_u32_e32 v23, s6, v23
	global_load_dwordx4 v[16:19], v[20:21], off
	global_load_dwordx4 v[12:15], v[22:23], off
	v_mad_u64_u32 v[42:43], s[10:11], s8, v100, v[22:23]
	v_add_u32_e32 v43, s6, v43
	global_load_dwordx4 v[20:23], v220, s[12:13] offset:1760
	global_load_dwordx4 v[24:27], v220, s[12:13] offset:2640
	v_mad_u64_u32 v[44:45], s[10:11], s8, v100, v[42:43]
	v_add_u32_e32 v45, s6, v45
	v_mad_u64_u32 v[46:47], s[10:11], s8, v100, v[44:45]
	global_load_dwordx4 v[36:39], v[42:43], off
	global_load_dwordx4 v[28:31], v[44:45], off
	global_load_dwordx4 v[32:35], v220, s[12:13] offset:3520
	v_add_u32_e32 v47, s6, v47
	s_movk_i32 s7, 0x1000
	v_mad_u64_u32 v[58:59], s[10:11], s8, v100, v[46:47]
	global_load_dwordx4 v[42:45], v[46:47], off
	v_add_co_u32_e32 v82, vcc, s7, v40
	v_add_u32_e32 v59, s6, v59
	s_nop 0
	v_addc_co_u32_e32 v83, vcc, 0, v41, vcc
	global_load_dwordx4 v[46:49], v[58:59], off
	global_load_dwordx4 v[50:53], v[82:83], off offset:304
	global_load_dwordx4 v[54:57], v[82:83], off offset:1184
	v_mad_u64_u32 v[62:63], s[10:11], s8, v100, v[58:59]
	v_add_u32_e32 v63, s6, v63
	v_mad_u64_u32 v[74:75], s[10:11], s8, v100, v[62:63]
	global_load_dwordx4 v[58:61], v[62:63], off
	v_add_u32_e32 v75, s6, v75
	global_load_dwordx4 v[62:65], v[74:75], off
	global_load_dwordx4 v[66:69], v[82:83], off offset:2064
	global_load_dwordx4 v[70:73], v[82:83], off offset:2944
	v_mad_u64_u32 v[84:85], s[10:11], s8, v100, v[74:75]
	v_add_u32_e32 v85, s6, v85
	s_movk_i32 s7, 0x2000
	global_load_dwordx4 v[74:77], v[84:85], off
	global_load_dwordx4 v[78:81], v[82:83], off offset:3824
	v_mad_u64_u32 v[90:91], s[10:11], s8, v100, v[84:85]
	v_add_co_u32_e32 v40, vcc, s7, v40
	v_add_u32_e32 v91, s6, v91
	s_nop 0
	v_addc_co_u32_e32 v41, vcc, 0, v41, vcc
	global_load_dwordx4 v[82:85], v[90:91], off
	global_load_dwordx4 v[86:89], v[40:41], off offset:608
	v_mad_u64_u32 v[98:99], s[10:11], s8, v100, v[90:91]
	v_add_u32_e32 v99, s6, v99
	global_load_dwordx4 v[90:93], v[98:99], off
	global_load_dwordx4 v[94:97], v[40:41], off offset:1488
	v_mad_u64_u32 v[106:107], s[8:9], s8, v100, v[98:99]
	v_add_u32_e32 v107, s6, v107
	global_load_dwordx4 v[98:101], v[40:41], off offset:2368
	global_load_dwordx4 v[102:105], v[106:107], off
	v_lshl_add_u32 v40, v214, 4, v219
	s_waitcnt vmcnt(24)
	v_mul_f64 v[106:107], v[2:3], v[6:7]
	v_mul_f64 v[6:7], v[0:1], v[6:7]
	v_fmac_f64_e32 v[106:107], v[0:1], v[4:5]
	v_fma_f64 v[108:109], v[2:3], v[4:5], -v[6:7]
	s_waitcnt vmcnt(22)
	v_mul_f64 v[0:1], v[18:19], v[10:11]
	v_mul_f64 v[2:3], v[16:17], v[10:11]
	v_fmac_f64_e32 v[0:1], v[16:17], v[8:9]
	v_add_u32_e32 v4, v219, v220
	v_fma_f64 v[2:3], v[18:19], v[8:9], -v[2:3]
	ds_write_b128 v40, v[106:109]
	ds_write_b128 v4, v[0:3] offset:880
	s_waitcnt vmcnt(20)
	v_mul_f64 v[0:1], v[14:15], v[22:23]
	v_mul_f64 v[2:3], v[12:13], v[22:23]
	v_fmac_f64_e32 v[0:1], v[12:13], v[20:21]
	v_fma_f64 v[2:3], v[14:15], v[20:21], -v[2:3]
	ds_write_b128 v4, v[0:3] offset:1760
	s_waitcnt vmcnt(18)
	v_mul_f64 v[0:1], v[38:39], v[26:27]
	v_mul_f64 v[2:3], v[36:37], v[26:27]
	v_fmac_f64_e32 v[0:1], v[36:37], v[24:25]
	v_fma_f64 v[2:3], v[38:39], v[24:25], -v[2:3]
	;; [unrolled: 6-line block ×11, first 2 shown]
	ds_write_b128 v4, v[0:3] offset:10560
.LBB0_3:
	s_or_b64 exec, exec, s[2:3]
	s_waitcnt lgkmcnt(0)
	s_barrier
	s_waitcnt lgkmcnt(0)
                                        ; implicit-def: $vgpr0_vgpr1
                                        ; implicit-def: $vgpr4_vgpr5
                                        ; implicit-def: $vgpr8_vgpr9
                                        ; implicit-def: $vgpr12_vgpr13
                                        ; implicit-def: $vgpr16_vgpr17
                                        ; implicit-def: $vgpr20_vgpr21
                                        ; implicit-def: $vgpr24_vgpr25
                                        ; implicit-def: $vgpr28_vgpr29
                                        ; implicit-def: $vgpr32_vgpr33
                                        ; implicit-def: $vgpr36_vgpr37
                                        ; implicit-def: $vgpr40_vgpr41
                                        ; implicit-def: $vgpr44_vgpr45
                                        ; implicit-def: $vgpr60_vgpr61
	s_and_saveexec_b64 s[2:3], s[4:5]
	s_cbranch_execz .LBB0_5
; %bb.4:
	v_lshl_add_u32 v48, v218, 4, v220
	ds_read_b128 v[0:3], v48
	ds_read_b128 v[4:7], v48 offset:880
	ds_read_b128 v[8:11], v48 offset:1760
	;; [unrolled: 1-line block ×12, first 2 shown]
.LBB0_5:
	s_or_b64 exec, exec, s[2:3]
	s_mov_b32 s26, 0x4267c47c
	s_waitcnt lgkmcnt(0)
	v_add_f64 v[80:81], v[6:7], -v[62:63]
	s_mov_b32 s2, 0xe00740e9
	s_mov_b32 s27, 0xbfddbe06
	;; [unrolled: 1-line block ×3, first 2 shown]
	v_add_f64 v[92:93], v[4:5], v[60:61]
	v_add_f64 v[100:101], v[4:5], -v[60:61]
	s_mov_b32 s3, 0x3fec55a7
	v_mul_f64 v[84:85], v[80:81], s[26:27]
	s_mov_b32 s8, 0x1ea71119
	s_mov_b32 s31, 0xbfea55e2
	v_add_f64 v[122:123], v[10:11], -v[46:47]
	v_add_f64 v[82:83], v[6:7], v[62:63]
	v_mul_f64 v[86:87], v[100:101], s[26:27]
	v_fma_f64 v[48:49], s[2:3], v[92:93], v[84:85]
	s_mov_b32 s9, 0x3fe22d96
	s_mov_b32 s22, 0x66966769
	v_add_f64 v[104:105], v[8:9], v[44:45]
	v_add_f64 v[110:111], v[8:9], -v[44:45]
	v_mul_f64 v[88:89], v[122:123], s[30:31]
	v_add_f64 v[48:49], v[0:1], v[48:49]
	v_fma_f64 v[50:51], v[82:83], s[2:3], -v[86:87]
	s_mov_b32 s10, 0xebaa3ed8
	s_mov_b32 s23, 0xbfefc445
	v_add_f64 v[138:139], v[10:11], v[46:47]
	v_mul_f64 v[90:91], v[110:111], s[30:31]
	v_fma_f64 v[52:53], s[8:9], v[104:105], v[88:89]
	v_add_f64 v[158:159], v[14:15], -v[42:43]
	v_add_f64 v[50:51], v[2:3], v[50:51]
	s_mov_b32 s11, 0x3fbedb7d
	v_add_f64 v[48:49], v[52:53], v[48:49]
	v_fma_f64 v[52:53], v[138:139], s[8:9], -v[90:91]
	s_mov_b32 s24, 0x2ef20147
	v_add_f64 v[112:113], v[12:13], v[40:41]
	v_add_f64 v[126:127], v[12:13], -v[40:41]
	v_mul_f64 v[94:95], v[158:159], s[22:23]
	v_add_f64 v[50:51], v[52:53], v[50:51]
	s_mov_b32 s16, 0xb2365da1
	s_mov_b32 s25, 0xbfedeba7
	v_add_f64 v[130:131], v[14:15], v[42:43]
	v_mul_f64 v[96:97], v[126:127], s[22:23]
	v_fma_f64 v[52:53], s[10:11], v[112:113], v[94:95]
	v_add_f64 v[174:175], v[18:19], -v[38:39]
	s_mov_b32 s17, 0xbfd6b1d8
	v_add_f64 v[48:49], v[52:53], v[48:49]
	v_fma_f64 v[52:53], v[130:131], s[10:11], -v[96:97]
	v_add_f64 v[120:121], v[16:17], v[36:37]
	v_add_f64 v[152:153], v[16:17], -v[36:37]
	v_mul_f64 v[98:99], v[174:175], s[24:25]
	s_mov_b32 s34, 0x24c2f84
	v_add_f64 v[50:51], v[52:53], v[50:51]
	v_add_f64 v[132:133], v[18:19], v[38:39]
	v_mul_f64 v[102:103], v[152:153], s[24:25]
	v_fma_f64 v[52:53], s[16:17], v[120:121], v[98:99]
	s_mov_b32 s28, 0xd0032e0c
	s_mov_b32 s35, 0x3fe5384d
	v_add_f64 v[204:205], v[22:23], -v[34:35]
	s_mov_b32 s39, 0xbfe5384d
	s_mov_b32 s38, s34
	;; [unrolled: 1-line block ×3, first 2 shown]
	v_add_f64 v[48:49], v[52:53], v[48:49]
	v_fma_f64 v[52:53], v[132:133], s[16:17], -v[102:103]
	s_mov_b32 s29, 0xbfe7f3cc
	v_add_f64 v[146:147], v[20:21], v[32:33]
	v_add_f64 v[178:179], v[20:21], -v[32:33]
	v_mul_f64 v[106:107], v[204:205], s[38:39]
	s_mov_b32 s20, 0x93053d00
	s_mov_b32 s37, 0xbfcea1e5
	v_add_f64 v[50:51], v[52:53], v[50:51]
	v_add_f64 v[148:149], v[22:23], v[34:35]
	v_mul_f64 v[108:109], v[178:179], s[38:39]
	v_fma_f64 v[52:53], s[28:29], v[146:147], v[106:107]
	v_add_f64 v[216:217], v[26:27], -v[30:31]
	s_mov_b32 s21, 0xbfef11f4
	v_add_f64 v[48:49], v[52:53], v[48:49]
	v_fma_f64 v[52:53], v[148:149], s[28:29], -v[108:109]
	v_add_f64 v[156:157], v[24:25], v[28:29]
	v_mul_f64 v[114:115], v[216:217], s[36:37]
	v_add_f64 v[208:209], v[24:25], -v[28:29]
	v_add_f64 v[50:51], v[52:53], v[50:51]
	v_fma_f64 v[52:53], s[20:21], v[156:157], v[114:115]
	v_add_f64 v[162:163], v[26:27], v[30:31]
	v_mul_f64 v[116:117], v[208:209], s[36:37]
	v_add_f64 v[48:49], v[52:53], v[48:49]
	v_fma_f64 v[52:53], v[162:163], s[20:21], -v[116:117]
	v_mul_f64 v[118:119], v[80:81], s[30:31]
	v_add_f64 v[50:51], v[52:53], v[50:51]
	v_fma_f64 v[52:53], s[8:9], v[92:93], v[118:119]
	v_mul_f64 v[124:125], v[122:123], s[24:25]
	v_add_f64 v[52:53], v[0:1], v[52:53]
	v_fma_f64 v[54:55], s[16:17], v[104:105], v[124:125]
	v_mul_f64 v[134:135], v[100:101], s[30:31]
	v_add_f64 v[52:53], v[54:55], v[52:53]
	v_fma_f64 v[54:55], v[82:83], s[8:9], -v[134:135]
	v_mul_f64 v[140:141], v[110:111], s[24:25]
	v_add_f64 v[54:55], v[2:3], v[54:55]
	v_fma_f64 v[56:57], v[138:139], s[16:17], -v[140:141]
	v_mul_f64 v[128:129], v[158:159], s[36:37]
	v_add_f64 v[54:55], v[56:57], v[54:55]
	v_fma_f64 v[56:57], s[20:21], v[112:113], v[128:129]
	v_mul_f64 v[144:145], v[126:127], s[36:37]
	v_add_f64 v[52:53], v[56:57], v[52:53]
	v_fma_f64 v[56:57], v[130:131], s[20:21], -v[144:145]
	v_mul_f64 v[136:137], v[174:175], s[34:35]
	v_add_f64 v[54:55], v[56:57], v[54:55]
	v_fma_f64 v[56:57], s[28:29], v[120:121], v[136:137]
	v_mul_f64 v[150:151], v[152:153], s[34:35]
	s_mov_b32 s43, 0x3fefc445
	s_mov_b32 s42, s22
	v_add_f64 v[52:53], v[56:57], v[52:53]
	v_fma_f64 v[56:57], v[132:133], s[28:29], -v[150:151]
	v_mul_f64 v[142:143], v[204:205], s[42:43]
	v_add_f64 v[54:55], v[56:57], v[54:55]
	v_fma_f64 v[56:57], s[10:11], v[146:147], v[142:143]
	v_mul_f64 v[160:161], v[178:179], s[42:43]
	s_mov_b32 s41, 0x3fddbe06
	s_mov_b32 s40, s26
	v_add_f64 v[52:53], v[56:57], v[52:53]
	v_fma_f64 v[56:57], v[148:149], s[10:11], -v[160:161]
	v_mul_f64 v[154:155], v[216:217], s[40:41]
	v_add_f64 v[54:55], v[56:57], v[54:55]
	v_fma_f64 v[56:57], s[2:3], v[156:157], v[154:155]
	v_mul_f64 v[164:165], v[208:209], s[40:41]
	v_add_f64 v[52:53], v[56:57], v[52:53]
	v_fma_f64 v[56:57], v[162:163], s[2:3], -v[164:165]
	v_mul_f64 v[168:169], v[80:81], s[22:23]
	v_add_f64 v[54:55], v[56:57], v[54:55]
	v_fma_f64 v[56:57], s[10:11], v[92:93], v[168:169]
	v_mul_f64 v[172:173], v[122:123], s[36:37]
	v_add_f64 v[56:57], v[0:1], v[56:57]
	v_fma_f64 v[58:59], s[20:21], v[104:105], v[172:173]
	v_mul_f64 v[184:185], v[100:101], s[22:23]
	v_add_f64 v[56:57], v[58:59], v[56:57]
	v_fma_f64 v[58:59], v[82:83], s[10:11], -v[184:185]
	v_mul_f64 v[188:189], v[110:111], s[36:37]
	s_mov_b32 s45, 0x3fedeba7
	s_mov_b32 s44, s24
	v_add_f64 v[58:59], v[2:3], v[58:59]
	v_fma_f64 v[64:65], v[138:139], s[20:21], -v[188:189]
	v_mul_f64 v[180:181], v[158:159], s[44:45]
	v_add_f64 v[58:59], v[64:65], v[58:59]
	v_fma_f64 v[64:65], s[16:17], v[112:113], v[180:181]
	v_mul_f64 v[196:197], v[126:127], s[44:45]
	v_add_f64 v[56:57], v[64:65], v[56:57]
	v_fma_f64 v[64:65], v[130:131], s[16:17], -v[196:197]
	v_mul_f64 v[186:187], v[174:175], s[40:41]
	v_add_f64 v[58:59], v[64:65], v[58:59]
	v_fma_f64 v[64:65], s[2:3], v[120:121], v[186:187]
	v_mul_f64 v[202:203], v[152:153], s[40:41]
	;; [unrolled: 6-line block ×3, first 2 shown]
	v_add_f64 v[56:57], v[64:65], v[56:57]
	v_fma_f64 v[64:65], v[148:149], s[8:9], -v[206:207]
	v_mul_f64 v[198:199], v[216:217], s[38:39]
	s_load_dwordx2 s[6:7], s[0:1], 0x20
	s_nop 0
	s_load_dwordx2 s[0:1], s[0:1], 0x8
	v_add_f64 v[58:59], v[64:65], v[58:59]
	v_fma_f64 v[64:65], s[28:29], v[156:157], v[198:199]
	v_mul_f64 v[212:213], v[208:209], s[38:39]
	v_add_f64 v[56:57], v[64:65], v[56:57]
	v_fma_f64 v[64:65], v[162:163], s[28:29], -v[212:213]
	v_add_f64 v[58:59], v[64:65], v[58:59]
	v_mul_lo_u16_e32 v64, 13, v214
	v_accvgpr_write_b32 a3, v64
	s_waitcnt lgkmcnt(0)
	s_barrier
	s_mov_b64 s[18:19], exec
	s_and_b64 s[46:47], s[18:19], s[4:5]
	v_accvgpr_write_b32 a0, v210
	v_accvgpr_write_b32 a2, v214
	s_mov_b64 exec, s[46:47]
	s_cbranch_execz .LBB0_7
; %bb.6:
	v_mul_f64 v[224:225], v[82:83], s[20:21]
	s_mov_b32 s47, 0x3fcea1e5
	s_mov_b32 s46, s36
	v_mov_b32_e32 v248, v220
	v_mul_f64 v[220:221], v[138:139], s[2:3]
	v_fma_f64 v[226:227], s[46:47], v[100:101], v[224:225]
	v_mul_f64 v[238:239], v[80:81], s[36:37]
	v_mul_f64 v[76:77], v[130:131], s[28:29]
	v_fma_f64 v[222:223], s[26:27], v[110:111], v[220:221]
	v_add_f64 v[226:227], v[2:3], v[226:227]
	v_mul_f64 v[234:235], v[122:123], s[40:41]
	v_fma_f64 v[240:241], s[20:21], v[92:93], v[238:239]
	v_mul_f64 v[72:73], v[132:133], s[8:9]
	v_fma_f64 v[78:79], s[34:35], v[126:127], v[76:77]
	v_add_f64 v[222:223], v[222:223], v[226:227]
	s_mov_b32 s49, 0x3fea55e2
	s_mov_b32 s48, s30
	v_mul_f64 v[230:231], v[158:159], s[38:39]
	v_fma_f64 v[236:237], s[2:3], v[104:105], v[234:235]
	v_add_f64 v[240:241], v[0:1], v[240:241]
	v_mul_f64 v[70:71], v[148:149], s[16:17]
	v_fma_f64 v[74:75], s[30:31], v[152:153], v[72:73]
	v_add_f64 v[78:79], v[78:79], v[222:223]
	;; [unrolled: 3-line block ×5, first 2 shown]
	v_fma_f64 v[64:65], s[22:23], v[208:209], v[68:69]
	v_add_f64 v[66:67], v[66:67], v[74:75]
	v_mul_f64 v[74:75], v[216:217], s[42:43]
	v_fma_f64 v[222:223], s[16:17], v[146:147], v[78:79]
	v_add_f64 v[228:229], v[228:229], v[232:233]
	v_add_f64 v[66:67], v[64:65], v[66:67]
	v_fma_f64 v[64:65], s[10:11], v[156:157], v[74:75]
	v_add_f64 v[222:223], v[222:223], v[228:229]
	v_fmac_f64_e32 v[224:225], s[36:37], v[100:101]
	v_add_f64 v[64:65], v[64:65], v[222:223]
	v_fmac_f64_e32 v[220:221], s[40:41], v[110:111]
	;; [unrolled: 2-line block ×5, first 2 shown]
	v_add_f64 v[72:73], v[72:73], v[76:77]
	v_fma_f64 v[220:221], v[92:93], s[20:21], -v[238:239]
	v_mul_f64 v[232:233], v[82:83], s[28:29]
	v_add_f64 v[70:71], v[70:71], v[72:73]
	v_fma_f64 v[72:73], v[146:147], s[16:17], -v[78:79]
	v_fma_f64 v[78:79], v[104:105], s[2:3], -v[234:235]
	v_add_f64 v[220:221], v[0:1], v[220:221]
	v_mul_f64 v[228:229], v[138:139], s[10:11]
	v_fma_f64 v[234:235], s[34:35], v[100:101], v[232:233]
	v_fmac_f64_e32 v[68:69], s[42:43], v[208:209]
	v_fma_f64 v[76:77], v[112:113], s[28:29], -v[230:231]
	v_add_f64 v[78:79], v[78:79], v[220:221]
	v_mul_f64 v[224:225], v[130:131], s[8:9]
	v_fma_f64 v[230:231], s[22:23], v[110:111], v[228:229]
	v_add_f64 v[234:235], v[2:3], v[234:235]
	v_add_f64 v[70:71], v[68:69], v[70:71]
	v_fma_f64 v[68:69], v[156:157], s[10:11], -v[74:75]
	v_fma_f64 v[74:75], v[120:121], s[8:9], -v[226:227]
	v_add_f64 v[76:77], v[76:77], v[78:79]
	v_mul_f64 v[220:221], v[132:133], s[20:21]
	v_fma_f64 v[226:227], s[48:49], v[126:127], v[224:225]
	v_add_f64 v[230:231], v[230:231], v[234:235]
	v_add_f64 v[74:75], v[74:75], v[76:77]
	v_mul_f64 v[78:79], v[148:149], s[2:3]
	v_fma_f64 v[222:223], s[36:37], v[152:153], v[220:221]
	v_add_f64 v[226:227], v[226:227], v[230:231]
	;; [unrolled: 4-line block ×3, first 2 shown]
	v_mul_f64 v[238:239], v[80:81], s[38:39]
	v_fmac_f64_e32 v[232:233], s[38:39], v[100:101]
	v_add_f64 v[68:69], v[68:69], v[72:73]
	v_fma_f64 v[72:73], s[44:45], v[208:209], v[76:77]
	v_add_f64 v[74:75], v[74:75], v[222:223]
	v_mul_f64 v[236:237], v[122:123], s[42:43]
	v_fma_f64 v[240:241], s[28:29], v[92:93], v[238:239]
	v_fmac_f64_e32 v[228:229], s[42:43], v[110:111]
	v_add_f64 v[232:233], v[2:3], v[232:233]
	v_add_f64 v[74:75], v[72:73], v[74:75]
	v_mul_f64 v[234:235], v[158:159], s[30:31]
	v_fma_f64 v[72:73], s[10:11], v[104:105], v[236:237]
	v_add_f64 v[240:241], v[0:1], v[240:241]
	v_add_f64 v[228:229], v[228:229], v[232:233]
	v_fmac_f64_e32 v[224:225], s[30:31], v[126:127]
	v_mul_f64 v[230:231], v[174:175], s[46:47]
	v_add_f64 v[72:73], v[72:73], v[240:241]
	v_fma_f64 v[240:241], s[8:9], v[112:113], v[234:235]
	v_add_f64 v[224:225], v[224:225], v[228:229]
	v_fmac_f64_e32 v[220:221], s[46:47], v[152:153]
	v_mul_f64 v[226:227], v[204:205], s[40:41]
	v_add_f64 v[72:73], v[240:241], v[72:73]
	v_fma_f64 v[240:241], s[20:21], v[120:121], v[230:231]
	;; [unrolled: 5-line block ×3, first 2 shown]
	v_fmac_f64_e32 v[76:77], s[24:25], v[208:209]
	v_add_f64 v[78:79], v[78:79], v[220:221]
	v_add_f64 v[72:73], v[240:241], v[72:73]
	v_fma_f64 v[240:241], s[16:17], v[156:157], v[222:223]
	v_add_f64 v[78:79], v[76:77], v[78:79]
	v_fma_f64 v[76:77], v[156:157], s[16:17], -v[222:223]
	v_fma_f64 v[222:223], v[120:121], s[20:21], -v[230:231]
	;; [unrolled: 1-line block ×3, first 2 shown]
	v_mul_f64 v[238:239], v[82:83], s[16:17]
	v_mul_f64 v[176:177], v[82:83], s[2:3]
	;; [unrolled: 1-line block ×5, first 2 shown]
	v_add_f64 v[72:73], v[240:241], v[72:73]
	v_mul_f64 v[240:241], v[138:139], s[16:17]
	v_mul_f64 v[232:233], v[138:139], s[20:21]
	v_fma_f64 v[220:221], v[146:147], s[2:3], -v[226:227]
	v_fma_f64 v[226:227], v[104:105], s[10:11], -v[236:237]
	v_add_f64 v[230:231], v[0:1], v[230:231]
	v_mul_f64 v[138:139], v[138:139], s[28:29]
	v_fma_f64 v[82:83], s[44:45], v[100:101], v[238:239]
	v_fma_f64 v[224:225], v[112:113], s[8:9], -v[234:235]
	v_add_f64 v[226:227], v[226:227], v[230:231]
	v_mul_f64 v[234:235], v[130:131], s[2:3]
	v_fma_f64 v[236:237], s[38:39], v[110:111], v[138:139]
	v_add_f64 v[82:83], v[2:3], v[82:83]
	v_add_f64 v[224:225], v[224:225], v[226:227]
	v_mul_f64 v[230:231], v[132:133], s[10:11]
	v_add_f64 v[82:83], v[236:237], v[82:83]
	v_fma_f64 v[236:237], s[26:27], v[126:127], v[234:235]
	v_add_f64 v[222:223], v[222:223], v[224:225]
	v_mul_f64 v[224:225], v[148:149], s[20:21]
	v_add_f64 v[82:83], v[236:237], v[82:83]
	v_fma_f64 v[236:237], s[42:43], v[152:153], v[230:231]
	v_add_f64 v[220:221], v[220:221], v[222:223]
	v_fma_f64 v[226:227], s[36:37], v[178:179], v[224:225]
	v_add_f64 v[82:83], v[236:237], v[82:83]
	v_add_f64 v[76:77], v[76:77], v[220:221]
	v_mul_f64 v[220:221], v[162:163], s[8:9]
	v_add_f64 v[82:83], v[226:227], v[82:83]
	v_mul_f64 v[226:227], v[80:81], s[24:25]
	v_mul_f64 v[166:167], v[92:93], s[2:3]
	;; [unrolled: 1-line block ×4, first 2 shown]
	v_fma_f64 v[222:223], s[30:31], v[208:209], v[220:221]
	v_mul_f64 v[122:123], v[122:123], s[34:35]
	v_fma_f64 v[80:81], s[16:17], v[92:93], v[226:227]
	v_fmac_f64_e32 v[238:239], s[24:25], v[100:101]
	v_fma_f64 v[92:93], v[92:93], s[16:17], -v[226:227]
	v_mul_f64 v[170:171], v[104:105], s[8:9]
	v_mul_f64 v[194:195], v[104:105], s[16:17]
	;; [unrolled: 1-line block ×3, first 2 shown]
	v_add_f64 v[82:83], v[222:223], v[82:83]
	v_mul_f64 v[158:159], v[158:159], s[40:41]
	v_fma_f64 v[222:223], s[28:29], v[104:105], v[122:123]
	v_add_f64 v[80:81], v[0:1], v[80:81]
	v_fmac_f64_e32 v[138:139], s[34:35], v[110:111]
	v_add_f64 v[110:111], v[2:3], v[238:239]
	v_fma_f64 v[104:105], v[104:105], s[28:29], -v[122:123]
	v_add_f64 v[92:93], v[0:1], v[92:93]
	v_mul_f64 v[174:175], v[174:175], s[22:23]
	v_add_f64 v[80:81], v[222:223], v[80:81]
	v_fma_f64 v[222:223], s[2:3], v[112:113], v[158:159]
	v_fmac_f64_e32 v[234:235], s[40:41], v[126:127]
	v_add_f64 v[110:111], v[138:139], v[110:111]
	v_fma_f64 v[158:159], v[112:113], s[2:3], -v[158:159]
	v_add_f64 v[92:93], v[104:105], v[92:93]
	v_mul_f64 v[204:205], v[204:205], s[46:47]
	v_add_f64 v[80:81], v[222:223], v[80:81]
	v_fma_f64 v[222:223], s[10:11], v[120:121], v[174:175]
	v_fmac_f64_e32 v[230:231], s[22:23], v[152:153]
	v_mul_f64 v[152:153], v[120:121], s[16:17]
	v_mul_f64 v[246:247], v[120:121], s[28:29]
	;; [unrolled: 1-line block ×3, first 2 shown]
	v_add_f64 v[110:111], v[234:235], v[110:111]
	v_fma_f64 v[120:121], v[120:121], s[10:11], -v[174:175]
	v_add_f64 v[92:93], v[158:159], v[92:93]
	v_mul_f64 v[216:217], v[216:217], s[48:49]
	v_add_f64 v[80:81], v[222:223], v[80:81]
	v_fma_f64 v[222:223], s[20:21], v[146:147], v[204:205]
	v_fmac_f64_e32 v[224:225], s[46:47], v[178:179]
	v_add_f64 v[110:111], v[230:231], v[110:111]
	v_mul_f64 v[230:231], v[148:149], s[28:29]
	v_mul_f64 v[174:175], v[148:149], s[10:11]
	v_fma_f64 v[204:205], v[146:147], s[20:21], -v[204:205]
	v_mul_f64 v[148:149], v[148:149], s[8:9]
	v_add_f64 v[92:93], v[120:121], v[92:93]
	v_add_f64 v[80:81], v[222:223], v[80:81]
	v_fma_f64 v[222:223], s[8:9], v[156:157], v[216:217]
	v_fmac_f64_e32 v[220:221], s[48:49], v[208:209]
	v_mul_f64 v[244:245], v[132:133], s[16:17]
	v_mul_f64 v[100:101], v[132:133], s[28:29]
	;; [unrolled: 1-line block ×3, first 2 shown]
	v_add_f64 v[110:111], v[224:225], v[110:111]
	v_fma_f64 v[122:123], v[156:157], s[8:9], -v[216:217]
	v_add_f64 v[92:93], v[204:205], v[92:93]
	v_add_f64 v[120:121], v[206:207], v[148:149]
	;; [unrolled: 1-line block ×3, first 2 shown]
	v_mul_f64 v[228:229], v[112:113], s[10:11]
	v_add_f64 v[80:81], v[222:223], v[80:81]
	v_mul_f64 v[222:223], v[130:131], s[10:11]
	v_mul_f64 v[236:237], v[112:113], s[20:21]
	;; [unrolled: 1-line block ×5, first 2 shown]
	v_add_f64 v[112:113], v[220:221], v[110:111]
	v_add_f64 v[110:111], v[122:123], v[92:93]
	;; [unrolled: 1-line block ×8, first 2 shown]
	v_mul_f64 v[238:239], v[162:163], s[20:21]
	v_mul_f64 v[104:105], v[162:163], s[2:3]
	;; [unrolled: 1-line block ×3, first 2 shown]
	v_add_f64 v[122:123], v[122:123], v[130:131]
	v_mul_f64 v[138:139], v[146:147], s[28:29]
	v_mul_f64 v[224:225], v[146:147], s[10:11]
	;; [unrolled: 1-line block ×3, first 2 shown]
	v_add_f64 v[92:93], v[212:213], v[162:163]
	v_add_f64 v[120:121], v[120:121], v[122:123]
	;; [unrolled: 1-line block ×3, first 2 shown]
	v_add_f64 v[120:121], v[146:147], -v[192:193]
	v_add_f64 v[146:147], v[210:211], -v[168:169]
	;; [unrolled: 1-line block ×3, first 2 shown]
	v_add_f64 v[146:147], v[0:1], v[146:147]
	v_add_f64 v[130:131], v[178:179], -v[180:181]
	v_add_f64 v[132:133], v[132:133], v[146:147]
	v_add_f64 v[130:131], v[130:131], v[132:133]
	;; [unrolled: 1-line block ×3, first 2 shown]
	v_add_f64 v[118:119], v[190:191], -v[118:119]
	v_add_f64 v[86:87], v[86:87], v[176:177]
	v_add_f64 v[84:85], v[166:167], -v[84:85]
	v_add_f64 v[126:127], v[126:127], -v[186:187]
	v_add_f64 v[132:133], v[2:3], v[132:133]
	v_add_f64 v[118:119], v[0:1], v[118:119]
	;; [unrolled: 1-line block ×10, first 2 shown]
	v_mul_f64 v[234:235], v[156:157], s[20:21]
	v_mul_f64 v[226:227], v[156:157], s[2:3]
	;; [unrolled: 1-line block ×3, first 2 shown]
	v_add_f64 v[120:121], v[120:121], v[126:127]
	v_add_f64 v[126:127], v[144:145], v[208:209]
	;; [unrolled: 1-line block ×5, first 2 shown]
	v_add_f64 v[92:93], v[156:157], -v[198:199]
	v_add_f64 v[100:101], v[150:151], v[100:101]
	v_add_f64 v[126:127], v[126:127], v[130:131]
	v_add_f64 v[124:125], v[194:195], -v[124:125]
	v_add_f64 v[2:3], v[2:3], v[18:19]
	v_add_f64 v[0:1], v[0:1], v[16:17]
	;; [unrolled: 1-line block ×6, first 2 shown]
	v_add_f64 v[128:129], v[236:237], -v[128:129]
	v_add_f64 v[118:119], v[124:125], v[118:119]
	v_add_f64 v[2:3], v[2:3], v[22:23]
	v_add_f64 v[0:1], v[0:1], v[20:21]
	v_add_f64 v[100:101], v[104:105], v[100:101]
	v_add_f64 v[104:105], v[246:247], -v[136:137]
	v_add_f64 v[118:119], v[128:129], v[118:119]
	v_add_f64 v[90:91], v[90:91], v[182:183]
	v_add_f64 v[2:3], v[2:3], v[26:27]
	v_add_f64 v[0:1], v[0:1], v[24:25]
	v_add_f64 v[126:127], v[92:93], v[100:101]
	v_add_f64 v[100:101], v[224:225], -v[142:143]
	v_add_f64 v[104:105], v[104:105], v[118:119]
	;; [unrolled: 6-line block ×3, first 2 shown]
	v_add_f64 v[102:103], v[102:103], v[244:245]
	v_add_f64 v[86:87], v[96:97], v[86:87]
	v_add_f64 v[88:89], v[170:171], -v[88:89]
	v_add_f64 v[2:3], v[2:3], v[34:35]
	v_add_f64 v[0:1], v[0:1], v[32:33]
	v_add_f64 v[124:125], v[92:93], v[100:101]
	v_add_f64 v[100:101], v[108:109], v[230:231]
	v_add_f64 v[86:87], v[102:103], v[86:87]
	v_add_f64 v[94:95], v[228:229], -v[94:95]
	v_add_f64 v[84:85], v[88:89], v[84:85]
	v_add_f64 v[2:3], v[2:3], v[38:39]
	v_add_f64 v[0:1], v[0:1], v[36:37]
	v_add_f64 v[92:93], v[116:117], v[238:239]
	v_add_f64 v[86:87], v[100:101], v[86:87]
	v_add_f64 v[96:97], v[152:153], -v[98:99]
	v_add_f64 v[84:85], v[94:95], v[84:85]
	v_add_f64 v[2:3], v[2:3], v[42:43]
	v_add_f64 v[0:1], v[0:1], v[40:41]
	v_add_f64 v[86:87], v[92:93], v[86:87]
	v_add_f64 v[92:93], v[138:139], -v[106:107]
	v_add_f64 v[84:85], v[96:97], v[84:85]
	v_add_f64 v[2:3], v[2:3], v[46:47]
	;; [unrolled: 1-line block ×3, first 2 shown]
	v_accvgpr_read_b32 v4, a3
	v_mov_b32_e32 v220, v248
	v_accvgpr_read_b32 v214, a2
	v_accvgpr_read_b32 v210, a0
	v_add_f64 v[90:91], v[234:235], -v[114:115]
	v_add_f64 v[84:85], v[92:93], v[84:85]
	v_add_f64 v[2:3], v[2:3], v[62:63]
	;; [unrolled: 1-line block ×3, first 2 shown]
	v_add_lshl_u32 v4, v218, v4, 4
	v_add_f64 v[84:85], v[90:91], v[84:85]
	ds_write_b128 v4, v[0:3]
	ds_write_b128 v4, v[84:87] offset:16
	ds_write_b128 v4, v[124:127] offset:32
	;; [unrolled: 1-line block ×12, first 2 shown]
.LBB0_7:
	s_or_b64 exec, exec, s[18:19]
	v_add_lshl_u32 v208, v218, v214, 4
	s_waitcnt lgkmcnt(0)
	s_barrier
	ds_read_b128 v[64:67], v208
	ds_read_b128 v[60:63], v208 offset:1040
	ds_read_b128 v[84:87], v208 offset:2288
	;; [unrolled: 1-line block ×9, first 2 shown]
	v_cmp_gt_u16_e64 s[2:3], 13, v214
                                        ; implicit-def: $vgpr100_vgpr101
                                        ; implicit-def: $vgpr104_vgpr105
	s_and_saveexec_b64 s[8:9], s[2:3]
	s_cbranch_execz .LBB0_9
; %bb.8:
	ds_read_b128 v[56:59], v208 offset:2080
	ds_read_b128 v[52:55], v208 offset:4368
	;; [unrolled: 1-line block ×5, first 2 shown]
.LBB0_9:
	s_or_b64 exec, exec, s[8:9]
	s_movk_i32 s8, 0x4f
	v_mul_lo_u16_sdwa v0, v214, s8 dst_sel:DWORD dst_unused:UNUSED_PAD src0_sel:BYTE_0 src1_sel:DWORD
	v_lshrrev_b16_e32 v108, 10, v0
	v_mul_lo_u16_e32 v0, 13, v108
	v_sub_u16_e32 v109, v214, v0
	v_mov_b32_e32 v0, 6
	v_lshlrev_b32_sdwa v1, v0, v109 dst_sel:DWORD dst_unused:UNUSED_PAD src0_sel:DWORD src1_sel:BYTE_0
	global_load_dwordx4 v[140:143], v1, s[0:1] offset:16
	global_load_dwordx4 v[28:31], v1, s[0:1]
	global_load_dwordx4 v[136:139], v1, s[0:1] offset:48
	global_load_dwordx4 v[144:147], v1, s[0:1] offset:32
	v_add_u16_e32 v1, 0x41, v214
	v_mul_lo_u16_sdwa v2, v1, s8 dst_sel:DWORD dst_unused:UNUSED_PAD src0_sel:BYTE_0 src1_sel:DWORD
	v_lshrrev_b16_e32 v16, 10, v2
	v_mul_lo_u16_e32 v2, 13, v16
	v_sub_u16_e32 v17, v1, v2
	v_lshlrev_b32_sdwa v0, v0, v17 dst_sel:DWORD dst_unused:UNUSED_PAD src0_sel:DWORD src1_sel:BYTE_0
	global_load_dwordx4 v[44:47], v0, s[0:1]
	global_load_dwordx4 v[40:43], v0, s[0:1] offset:16
	global_load_dwordx4 v[36:39], v0, s[0:1] offset:32
	;; [unrolled: 1-line block ×3, first 2 shown]
	v_add_u16_e32 v0, 0x82, v214
	v_mul_lo_u16_sdwa v1, v0, s8 dst_sel:DWORD dst_unused:UNUSED_PAD src0_sel:BYTE_0 src1_sel:DWORD
	v_lshrrev_b16_e32 v1, 10, v1
	v_mul_lo_u16_e32 v1, 13, v1
	v_sub_u16_e32 v0, v0, v1
	v_accvgpr_write_b32 a5, v0
	v_lshlrev_b16_e32 v0, 2, v0
	v_and_b32_e32 v0, 0xfc, v0
	v_lshlrev_b32_e32 v0, 4, v0
	global_load_dwordx4 v[22:25], v0, s[0:1]
	global_load_dwordx4 v[132:135], v0, s[0:1] offset:16
	global_load_dwordx4 v[128:131], v0, s[0:1] offset:32
	;; [unrolled: 1-line block ×3, first 2 shown]
	s_load_dwordx4 s[8:11], s[6:7], 0x0
	s_mov_b32 s6, 0x134454ff
	s_mov_b32 s7, 0x3fee6f0e
	;; [unrolled: 1-line block ×10, first 2 shown]
	v_mul_u32_u24_e32 v16, 0x41, v16
	v_add_u32_sdwa v16, v16, v17 dst_sel:DWORD dst_unused:UNUSED_PAD src0_sel:DWORD src1_sel:BYTE_0
	v_add_lshl_u32 v16, v218, v16, 4
	v_accvgpr_write_b32 a35, v16
	s_waitcnt lgkmcnt(0)
	s_barrier
	s_waitcnt vmcnt(11)
	v_mul_f64 v[2:3], v[90:91], v[142:143]
	s_waitcnt vmcnt(10)
	v_mul_f64 v[0:1], v[86:87], v[30:31]
	v_mul_f64 v[110:111], v[84:85], v[30:31]
	;; [unrolled: 1-line block ×3, first 2 shown]
	s_waitcnt vmcnt(8)
	v_mul_f64 v[4:5], v[94:95], v[146:147]
	v_mul_f64 v[114:115], v[92:93], v[146:147]
	;; [unrolled: 1-line block ×3, first 2 shown]
	s_waitcnt vmcnt(7)
	v_mul_f64 v[8:9], v[70:71], v[46:47]
	s_waitcnt vmcnt(6)
	v_mul_f64 v[10:11], v[74:75], v[42:43]
	v_fma_f64 v[84:85], v[84:85], v[28:29], -v[0:1]
	v_mul_f64 v[116:117], v[96:97], v[138:139]
	v_mul_f64 v[118:119], v[68:69], v[46:47]
	v_fmac_f64_e32 v[110:111], v[86:87], v[28:29]
	v_fma_f64 v[86:87], v[88:89], v[140:141], -v[2:3]
	v_fmac_f64_e32 v[112:113], v[90:91], v[140:141]
	v_fma_f64 v[88:89], v[92:93], v[144:145], -v[4:5]
	v_fmac_f64_e32 v[114:115], v[94:95], v[144:145]
	v_fma_f64 v[90:91], v[96:97], v[136:137], -v[6:7]
	v_fma_f64 v[94:95], v[68:69], v[44:45], -v[8:9]
	v_fma_f64 v[96:97], v[72:73], v[40:41], -v[10:11]
	s_waitcnt vmcnt(2)
	v_mul_f64 v[10:11], v[50:51], v[134:135]
	v_add_f64 v[68:69], v[64:65], v[84:85]
	v_mul_f64 v[120:121], v[72:73], v[42:43]
	v_fmac_f64_e32 v[116:117], v[98:99], v[136:137]
	v_fmac_f64_e32 v[118:119], v[70:71], v[44:45]
	v_mul_f64 v[2:3], v[48:49], v[134:135]
	v_add_f64 v[70:71], v[86:87], v[88:89]
	v_fma_f64 v[10:11], v[48:49], v[132:133], -v[10:11]
	v_add_f64 v[48:49], v[68:69], v[86:87]
	v_mul_f64 v[12:13], v[78:79], v[38:39]
	v_fmac_f64_e32 v[120:121], v[74:75], v[40:41]
	v_mul_f64 v[8:9], v[54:55], v[24:25]
	v_add_f64 v[74:75], v[110:111], -v[116:117]
	v_fma_f64 v[68:69], -0.5, v[70:71], v[64:65]
	v_add_f64 v[48:49], v[48:49], v[88:89]
	v_mul_f64 v[122:123], v[76:77], v[38:39]
	v_fma_f64 v[98:99], v[76:77], v[36:37], -v[12:13]
	v_mul_f64 v[0:1], v[52:53], v[24:25]
	v_fma_f64 v[8:9], v[52:53], v[22:23], -v[8:9]
	v_fmac_f64_e32 v[2:3], v[50:51], v[132:133]
	v_fma_f64 v[72:73], s[6:7], v[74:75], v[68:69]
	v_add_f64 v[76:77], v[48:49], v[90:91]
	v_add_f64 v[48:49], v[112:113], -v[114:115]
	v_add_f64 v[50:51], v[84:85], -v[86:87]
	;; [unrolled: 1-line block ×3, first 2 shown]
	v_fmac_f64_e32 v[68:69], s[20:21], v[74:75]
	v_fmac_f64_e32 v[72:73], s[16:17], v[48:49]
	v_add_f64 v[50:51], v[50:51], v[52:53]
	v_fmac_f64_e32 v[68:69], s[22:23], v[48:49]
	v_fmac_f64_e32 v[72:73], s[18:19], v[50:51]
	;; [unrolled: 1-line block ×3, first 2 shown]
	v_add_f64 v[50:51], v[84:85], v[90:91]
	v_mul_f64 v[14:15], v[82:83], v[34:35]
	v_fmac_f64_e32 v[64:65], -0.5, v[50:51]
	v_mul_f64 v[124:125], v[80:81], v[34:35]
	v_fma_f64 v[126:127], v[80:81], v[32:33], -v[14:15]
	v_fma_f64 v[80:81], s[20:21], v[48:49], v[64:65]
	v_fmac_f64_e32 v[64:65], s[6:7], v[48:49]
	v_add_f64 v[48:49], v[66:67], v[110:111]
	v_add_f64 v[48:49], v[48:49], v[112:113]
	;; [unrolled: 1-line block ×3, first 2 shown]
	v_fmac_f64_e32 v[122:123], v[78:79], v[36:37]
	v_add_f64 v[50:51], v[86:87], -v[84:85]
	v_add_f64 v[52:53], v[88:89], -v[90:91]
	v_add_f64 v[78:79], v[48:49], v[116:117]
	v_add_f64 v[48:49], v[112:113], v[114:115]
	v_fmac_f64_e32 v[80:81], s[16:17], v[74:75]
	v_add_f64 v[50:51], v[50:51], v[52:53]
	v_fmac_f64_e32 v[64:65], s[22:23], v[74:75]
	v_fma_f64 v[70:71], -0.5, v[48:49], v[66:67]
	v_add_f64 v[48:49], v[84:85], -v[90:91]
	v_fmac_f64_e32 v[0:1], v[54:55], v[22:23]
	v_fmac_f64_e32 v[80:81], s[18:19], v[50:51]
	;; [unrolled: 1-line block ×3, first 2 shown]
	v_fma_f64 v[74:75], s[20:21], v[48:49], v[70:71]
	v_add_f64 v[50:51], v[86:87], -v[88:89]
	v_add_f64 v[52:53], v[110:111], -v[112:113]
	;; [unrolled: 1-line block ×3, first 2 shown]
	v_fmac_f64_e32 v[70:71], s[6:7], v[48:49]
	v_fmac_f64_e32 v[74:75], s[22:23], v[50:51]
	v_add_f64 v[52:53], v[52:53], v[54:55]
	v_fmac_f64_e32 v[70:71], s[16:17], v[50:51]
	v_fmac_f64_e32 v[74:75], s[18:19], v[52:53]
	;; [unrolled: 1-line block ×3, first 2 shown]
	v_add_f64 v[52:53], v[110:111], v[116:117]
	v_fmac_f64_e32 v[66:67], -0.5, v[52:53]
	v_fmac_f64_e32 v[124:125], v[82:83], v[32:33]
	v_fma_f64 v[82:83], s[6:7], v[50:51], v[66:67]
	v_fmac_f64_e32 v[66:67], s[20:21], v[50:51]
	v_fmac_f64_e32 v[82:83], s[22:23], v[48:49]
	;; [unrolled: 1-line block ×3, first 2 shown]
	v_add_f64 v[48:49], v[60:61], v[94:95]
	v_add_f64 v[48:49], v[48:49], v[96:97]
	;; [unrolled: 1-line block ×3, first 2 shown]
	v_add_f64 v[52:53], v[112:113], -v[110:111]
	v_add_f64 v[54:55], v[114:115], -v[116:117]
	v_add_f64 v[84:85], v[48:49], v[126:127]
	v_add_f64 v[48:49], v[96:97], v[98:99]
	;; [unrolled: 1-line block ×3, first 2 shown]
	v_fma_f64 v[88:89], -0.5, v[48:49], v[60:61]
	v_add_f64 v[48:49], v[118:119], -v[124:125]
	v_fmac_f64_e32 v[82:83], s[18:19], v[52:53]
	v_fmac_f64_e32 v[66:67], s[18:19], v[52:53]
	v_fma_f64 v[92:93], s[6:7], v[48:49], v[88:89]
	v_add_f64 v[50:51], v[120:121], -v[122:123]
	v_add_f64 v[52:53], v[94:95], -v[96:97]
	;; [unrolled: 1-line block ×3, first 2 shown]
	v_fmac_f64_e32 v[88:89], s[20:21], v[48:49]
	v_fmac_f64_e32 v[92:93], s[16:17], v[50:51]
	v_add_f64 v[52:53], v[52:53], v[54:55]
	v_fmac_f64_e32 v[88:89], s[22:23], v[50:51]
	v_fmac_f64_e32 v[92:93], s[18:19], v[52:53]
	;; [unrolled: 1-line block ×3, first 2 shown]
	v_add_f64 v[52:53], v[94:95], v[126:127]
	s_waitcnt vmcnt(0)
	v_mul_f64 v[14:15], v[106:107], v[20:21]
	v_fmac_f64_e32 v[60:61], -0.5, v[52:53]
	v_mul_f64 v[6:7], v[104:105], v[20:21]
	v_fma_f64 v[14:15], v[104:105], v[18:19], -v[14:15]
	v_fma_f64 v[104:105], s[20:21], v[50:51], v[60:61]
	v_fmac_f64_e32 v[60:61], s[6:7], v[50:51]
	v_fmac_f64_e32 v[104:105], s[16:17], v[48:49]
	v_fmac_f64_e32 v[60:61], s[22:23], v[48:49]
	v_add_f64 v[48:49], v[62:63], v[118:119]
	v_add_f64 v[48:49], v[48:49], v[120:121]
	;; [unrolled: 1-line block ×3, first 2 shown]
	v_add_f64 v[52:53], v[96:97], -v[94:95]
	v_add_f64 v[54:55], v[98:99], -v[126:127]
	v_add_f64 v[86:87], v[48:49], v[124:125]
	v_add_f64 v[48:49], v[120:121], v[122:123]
	;; [unrolled: 1-line block ×3, first 2 shown]
	v_fma_f64 v[90:91], -0.5, v[48:49], v[62:63]
	v_add_f64 v[48:49], v[94:95], -v[126:127]
	v_fmac_f64_e32 v[104:105], s[18:19], v[52:53]
	v_fmac_f64_e32 v[60:61], s[18:19], v[52:53]
	v_fma_f64 v[94:95], s[20:21], v[48:49], v[90:91]
	v_add_f64 v[50:51], v[96:97], -v[98:99]
	v_add_f64 v[52:53], v[118:119], -v[120:121]
	;; [unrolled: 1-line block ×3, first 2 shown]
	v_fmac_f64_e32 v[90:91], s[6:7], v[48:49]
	v_fmac_f64_e32 v[94:95], s[22:23], v[50:51]
	v_add_f64 v[52:53], v[52:53], v[54:55]
	v_fmac_f64_e32 v[90:91], s[16:17], v[50:51]
	v_fmac_f64_e32 v[94:95], s[18:19], v[52:53]
	;; [unrolled: 1-line block ×3, first 2 shown]
	v_add_f64 v[52:53], v[118:119], v[124:125]
	v_mul_f64 v[12:13], v[102:103], v[130:131]
	v_fmac_f64_e32 v[62:63], -0.5, v[52:53]
	v_fma_f64 v[12:13], v[100:101], v[128:129], -v[12:13]
	v_fmac_f64_e32 v[6:7], v[106:107], v[18:19]
	v_fma_f64 v[106:107], s[6:7], v[50:51], v[62:63]
	v_fmac_f64_e32 v[62:63], s[20:21], v[50:51]
	v_mul_f64 v[4:5], v[100:101], v[130:131]
	v_fmac_f64_e32 v[106:107], s[22:23], v[48:49]
	v_add_f64 v[52:53], v[120:121], -v[118:119]
	v_add_f64 v[54:55], v[122:123], -v[124:125]
	v_fmac_f64_e32 v[62:63], s[16:17], v[48:49]
	v_add_f64 v[48:49], v[10:11], v[12:13]
	v_fmac_f64_e32 v[4:5], v[102:103], v[128:129]
	v_add_f64 v[52:53], v[52:53], v[54:55]
	v_fma_f64 v[48:49], -0.5, v[48:49], v[56:57]
	v_add_f64 v[50:51], v[0:1], -v[6:7]
	v_fmac_f64_e32 v[106:107], s[18:19], v[52:53]
	v_fmac_f64_e32 v[62:63], s[18:19], v[52:53]
	v_fma_f64 v[96:97], s[6:7], v[50:51], v[48:49]
	v_add_f64 v[54:55], v[2:3], -v[4:5]
	v_add_f64 v[52:53], v[8:9], -v[10:11]
	v_add_f64 v[98:99], v[14:15], -v[12:13]
	v_fmac_f64_e32 v[48:49], s[20:21], v[50:51]
	v_fmac_f64_e32 v[96:97], s[16:17], v[54:55]
	v_add_f64 v[52:53], v[52:53], v[98:99]
	v_fmac_f64_e32 v[48:49], s[22:23], v[54:55]
	v_fmac_f64_e32 v[96:97], s[18:19], v[52:53]
	;; [unrolled: 1-line block ×3, first 2 shown]
	v_add_f64 v[52:53], v[8:9], v[14:15]
	v_fma_f64 v[52:53], -0.5, v[52:53], v[56:57]
	v_fma_f64 v[100:101], s[20:21], v[54:55], v[52:53]
	v_fmac_f64_e32 v[52:53], s[6:7], v[54:55]
	v_fmac_f64_e32 v[100:101], s[16:17], v[50:51]
	v_add_f64 v[98:99], v[10:11], -v[8:9]
	v_add_f64 v[102:103], v[12:13], -v[14:15]
	v_fmac_f64_e32 v[52:53], s[22:23], v[50:51]
	v_add_f64 v[50:51], v[2:3], v[4:5]
	v_add_f64 v[98:99], v[98:99], v[102:103]
	v_fma_f64 v[50:51], -0.5, v[50:51], v[58:59]
	v_add_f64 v[110:111], v[8:9], -v[14:15]
	v_fmac_f64_e32 v[100:101], s[18:19], v[98:99]
	v_fmac_f64_e32 v[52:53], s[18:19], v[98:99]
	v_fma_f64 v[98:99], s[20:21], v[110:111], v[50:51]
	v_add_f64 v[112:113], v[10:11], -v[12:13]
	v_add_f64 v[54:55], v[0:1], -v[2:3]
	v_add_f64 v[102:103], v[6:7], -v[4:5]
	v_fmac_f64_e32 v[50:51], s[6:7], v[110:111]
	v_fmac_f64_e32 v[98:99], s[22:23], v[112:113]
	v_add_f64 v[54:55], v[54:55], v[102:103]
	v_fmac_f64_e32 v[50:51], s[16:17], v[112:113]
	v_accvgpr_write_b32 a6, v18
	v_fmac_f64_e32 v[98:99], s[18:19], v[54:55]
	v_fmac_f64_e32 v[50:51], s[18:19], v[54:55]
	v_add_f64 v[54:55], v[0:1], v[6:7]
	v_accvgpr_write_b32 a7, v19
	v_accvgpr_write_b32 a8, v20
	;; [unrolled: 1-line block ×3, first 2 shown]
	v_fma_f64 v[54:55], -0.5, v[54:55], v[58:59]
	v_mul_u32_u24_e32 v18, 0x41, v108
	v_fma_f64 v[102:103], s[6:7], v[112:113], v[54:55]
	v_add_f64 v[114:115], v[2:3], -v[0:1]
	v_add_f64 v[116:117], v[4:5], -v[6:7]
	v_fmac_f64_e32 v[54:55], s[20:21], v[112:113]
	v_add_u32_sdwa v18, v18, v109 dst_sel:DWORD dst_unused:UNUSED_PAD src0_sel:DWORD src1_sel:BYTE_0
	v_accvgpr_write_b32 a26, v140
	v_accvgpr_write_b32 a30, v144
	;; [unrolled: 1-line block ×6, first 2 shown]
	v_fmac_f64_e32 v[102:103], s[22:23], v[110:111]
	v_add_f64 v[114:115], v[114:115], v[116:117]
	v_fmac_f64_e32 v[54:55], s[16:17], v[110:111]
	v_add_lshl_u32 v18, v218, v18, 4
	v_accvgpr_write_b32 a27, v141
	v_accvgpr_write_b32 a28, v142
	;; [unrolled: 1-line block ×18, first 2 shown]
	v_fmac_f64_e32 v[102:103], s[18:19], v[114:115]
	v_fmac_f64_e32 v[54:55], s[18:19], v[114:115]
	v_accvgpr_write_b32 a34, v18
	ds_write_b128 v18, v[76:79]
	ds_write_b128 v18, v[72:75] offset:208
	ds_write_b128 v18, v[80:83] offset:416
	;; [unrolled: 1-line block ×4, first 2 shown]
	ds_write_b128 v16, v[84:87]
	ds_write_b128 v16, v[92:95] offset:208
	ds_write_b128 v16, v[104:107] offset:416
	;; [unrolled: 1-line block ×4, first 2 shown]
	s_and_saveexec_b64 s[6:7], s[2:3]
	s_cbranch_execz .LBB0_11
; %bb.10:
	v_add_f64 v[0:1], v[58:59], v[0:1]
	v_add_f64 v[0:1], v[0:1], v[2:3]
	;; [unrolled: 1-line block ×6, first 2 shown]
	v_accvgpr_read_b32 v4, a5
	v_add_f64 v[0:1], v[0:1], v[12:13]
	v_and_b32_e32 v4, 0xff, v4
	v_add_f64 v[0:1], v[0:1], v[14:15]
	v_add_lshl_u32 v4, v218, v4, 4
	ds_write_b128 v4, v[0:3] offset:10400
	ds_write_b128 v4, v[96:99] offset:10608
	;; [unrolled: 1-line block ×5, first 2 shown]
.LBB0_11:
	s_or_b64 exec, exec, s[6:7]
	s_movk_i32 s6, 0xa0
	v_mov_b64_e32 v[0:1], s[0:1]
	v_mad_u64_u32 v[0:1], s[0:1], v214, s6, v[0:1]
	s_waitcnt lgkmcnt(0)
	s_barrier
	global_load_dwordx4 v[68:71], v[0:1], off offset:832
	global_load_dwordx4 v[64:67], v[0:1], off offset:848
	global_load_dwordx4 v[60:63], v[0:1], off offset:864
	global_load_dwordx4 v[56:59], v[0:1], off offset:880
	global_load_dwordx4 v[84:87], v[0:1], off offset:896
	global_load_dwordx4 v[80:83], v[0:1], off offset:912
	global_load_dwordx4 v[76:79], v[0:1], off offset:928
	global_load_dwordx4 v[72:75], v[0:1], off offset:944
	global_load_dwordx4 v[92:95], v[0:1], off offset:960
	global_load_dwordx4 v[88:91], v[0:1], off offset:976
	ds_read_b128 v[108:111], v208
	ds_read_b128 v[4:7], v208 offset:1040
	ds_read_b128 v[12:15], v208 offset:2080
	;; [unrolled: 1-line block ×10, first 2 shown]
	s_mov_b32 s20, 0xf8bb580b
	s_mov_b32 s18, 0x43842ef
	;; [unrolled: 1-line block ×26, first 2 shown]
	v_lshl_add_u32 v209, v214, 4, v219
	s_waitcnt vmcnt(9) lgkmcnt(9)
	v_mul_f64 v[140:141], v[6:7], v[70:71]
	v_mul_f64 v[142:143], v[4:5], v[70:71]
	s_waitcnt vmcnt(8) lgkmcnt(8)
	v_mul_f64 v[144:145], v[14:15], v[66:67]
	v_mul_f64 v[146:147], v[12:13], v[66:67]
	s_waitcnt vmcnt(7) lgkmcnt(7)
	v_mul_f64 v[150:151], v[104:105], v[62:63]
	s_waitcnt vmcnt(5) lgkmcnt(5)
	v_mul_f64 v[154:155], v[118:119], v[86:87]
	v_fma_f64 v[140:141], v[4:5], v[68:69], -v[140:141]
	v_fmac_f64_e32 v[142:143], v[6:7], v[68:69]
	v_mul_f64 v[148:149], v[106:107], v[62:63]
	v_mul_f64 v[0:1], v[116:117], v[86:87]
	v_fma_f64 v[144:145], v[12:13], v[64:65], -v[144:145]
	v_fmac_f64_e32 v[146:147], v[14:15], v[64:65]
	v_fmac_f64_e32 v[150:151], v[106:107], v[60:61]
	v_fma_f64 v[4:5], v[116:117], v[84:85], -v[154:155]
	v_add_f64 v[106:107], v[108:109], v[140:141]
	v_add_f64 v[116:117], v[110:111], v[142:143]
	v_mul_f64 v[152:153], v[114:115], v[58:59]
	v_mul_f64 v[8:9], v[112:113], v[58:59]
	v_fma_f64 v[148:149], v[104:105], v[60:61], -v[148:149]
	v_add_f64 v[106:107], v[106:107], v[144:145]
	v_add_f64 v[116:117], v[116:117], v[146:147]
	v_fma_f64 v[12:13], v[112:113], v[56:57], -v[152:153]
	v_fmac_f64_e32 v[8:9], v[114:115], v[56:57]
	v_add_f64 v[106:107], v[106:107], v[148:149]
	v_add_f64 v[116:117], v[116:117], v[150:151]
	s_waitcnt vmcnt(4) lgkmcnt(4)
	v_mul_f64 v[156:157], v[122:123], v[82:83]
	v_mul_f64 v[2:3], v[120:121], v[82:83]
	v_fmac_f64_e32 v[0:1], v[118:119], v[84:85]
	v_add_f64 v[106:107], v[106:107], v[12:13]
	v_add_f64 v[116:117], v[116:117], v[8:9]
	s_waitcnt vmcnt(3) lgkmcnt(3)
	v_mul_f64 v[158:159], v[126:127], v[78:79]
	v_mul_f64 v[10:11], v[124:125], v[78:79]
	v_fma_f64 v[6:7], v[120:121], v[80:81], -v[156:157]
	v_fmac_f64_e32 v[2:3], v[122:123], v[80:81]
	v_add_f64 v[106:107], v[106:107], v[4:5]
	v_add_f64 v[116:117], v[116:117], v[0:1]
	s_waitcnt vmcnt(2) lgkmcnt(2)
	v_mul_f64 v[160:161], v[130:131], v[74:75]
	v_mul_f64 v[162:163], v[128:129], v[74:75]
	v_fma_f64 v[14:15], v[124:125], v[76:77], -v[158:159]
	v_fmac_f64_e32 v[10:11], v[126:127], v[76:77]
	v_add_f64 v[106:107], v[106:107], v[6:7]
	v_add_f64 v[116:117], v[116:117], v[2:3]
	s_waitcnt vmcnt(1) lgkmcnt(1)
	v_mul_f64 v[164:165], v[134:135], v[94:95]
	v_mul_f64 v[166:167], v[132:133], v[94:95]
	s_waitcnt vmcnt(0) lgkmcnt(0)
	v_mul_f64 v[168:169], v[138:139], v[90:91]
	v_mul_f64 v[170:171], v[136:137], v[90:91]
	v_fma_f64 v[112:113], v[128:129], v[72:73], -v[160:161]
	v_fmac_f64_e32 v[162:163], v[130:131], v[72:73]
	v_add_f64 v[106:107], v[106:107], v[14:15]
	v_add_f64 v[116:117], v[116:117], v[10:11]
	v_fma_f64 v[114:115], v[132:133], v[92:93], -v[164:165]
	v_fmac_f64_e32 v[166:167], v[134:135], v[92:93]
	v_fma_f64 v[104:105], v[136:137], v[88:89], -v[168:169]
	v_fmac_f64_e32 v[170:171], v[138:139], v[88:89]
	v_add_f64 v[106:107], v[106:107], v[112:113]
	v_add_f64 v[116:117], v[116:117], v[162:163]
	v_add_f64 v[122:123], v[140:141], -v[104:105]
	v_add_f64 v[124:125], v[142:143], -v[170:171]
	v_add_f64 v[106:107], v[106:107], v[114:115]
	v_add_f64 v[116:117], v[116:117], v[166:167]
	;; [unrolled: 1-line block ×6, first 2 shown]
	v_mul_f64 v[116:117], v[124:125], s[20:21]
	v_mul_f64 v[128:129], v[122:123], s[20:21]
	v_mul_f64 v[132:133], v[124:125], s[16:17]
	v_mul_f64 v[136:137], v[122:123], s[16:17]
	v_mul_f64 v[140:141], v[124:125], s[18:19]
	v_mul_f64 v[152:153], v[122:123], s[18:19]
	v_mul_f64 v[156:157], v[124:125], s[26:27]
	v_mul_f64 v[160:161], v[122:123], s[26:27]
	v_mul_f64 v[124:125], v[124:125], s[30:31]
	v_mul_f64 v[122:123], v[122:123], s[30:31]
	v_fma_f64 v[126:127], v[118:119], s[22:23], -v[116:117]
	v_fma_f64 v[130:131], s[22:23], v[120:121], v[128:129]
	v_fmac_f64_e32 v[116:117], s[22:23], v[118:119]
	v_fma_f64 v[128:129], v[120:121], s[22:23], -v[128:129]
	v_fma_f64 v[134:135], v[118:119], s[0:1], -v[132:133]
	v_fma_f64 v[138:139], s[0:1], v[120:121], v[136:137]
	v_fmac_f64_e32 v[132:133], s[0:1], v[118:119]
	v_fma_f64 v[136:137], v[120:121], s[0:1], -v[136:137]
	;; [unrolled: 4-line block ×5, first 2 shown]
	v_add_f64 v[122:123], v[146:147], -v[166:167]
	v_add_f64 v[126:127], v[108:109], v[126:127]
	v_add_f64 v[130:131], v[110:111], v[130:131]
	;; [unrolled: 1-line block ×21, first 2 shown]
	v_mul_f64 v[124:125], v[122:123], s[16:17]
	v_add_f64 v[114:115], v[144:145], -v[114:115]
	v_fma_f64 v[144:145], v[118:119], s[0:1], -v[124:125]
	v_add_f64 v[120:121], v[146:147], v[166:167]
	v_add_f64 v[126:127], v[144:145], v[126:127]
	v_mul_f64 v[144:145], v[114:115], s[16:17]
	v_fmac_f64_e32 v[124:125], s[0:1], v[118:119]
	v_add_f64 v[116:117], v[124:125], v[116:117]
	v_fma_f64 v[124:125], v[120:121], s[0:1], -v[144:145]
	v_add_f64 v[124:125], v[124:125], v[128:129]
	v_mul_f64 v[128:129], v[122:123], s[26:27]
	v_fma_f64 v[146:147], s[0:1], v[120:121], v[144:145]
	v_fma_f64 v[144:145], v[118:119], s[24:25], -v[128:129]
	v_add_f64 v[134:135], v[144:145], v[134:135]
	v_mul_f64 v[144:145], v[114:115], s[26:27]
	v_fmac_f64_e32 v[128:129], s[24:25], v[118:119]
	v_add_f64 v[128:129], v[128:129], v[132:133]
	v_fma_f64 v[132:133], v[120:121], s[24:25], -v[144:145]
	v_add_f64 v[132:133], v[132:133], v[136:137]
	v_mul_f64 v[136:137], v[122:123], s[38:39]
	v_add_f64 v[130:131], v[146:147], v[130:131]
	v_fma_f64 v[146:147], s[24:25], v[120:121], v[144:145]
	v_fma_f64 v[144:145], v[118:119], s[28:29], -v[136:137]
	v_add_f64 v[142:143], v[144:145], v[142:143]
	v_mul_f64 v[144:145], v[114:115], s[38:39]
	v_fmac_f64_e32 v[136:137], s[28:29], v[118:119]
	v_add_f64 v[138:139], v[146:147], v[138:139]
	v_fma_f64 v[146:147], s[28:29], v[120:121], v[144:145]
	v_add_f64 v[136:137], v[136:137], v[140:141]
	v_fma_f64 v[140:141], v[120:121], s[28:29], -v[144:145]
	v_mul_f64 v[144:145], v[122:123], s[36:37]
	v_add_f64 v[146:147], v[146:147], v[154:155]
	v_add_f64 v[140:141], v[140:141], v[152:153]
	v_fma_f64 v[152:153], v[118:119], s[6:7], -v[144:145]
	v_mul_f64 v[154:155], v[114:115], s[36:37]
	v_add_f64 v[152:153], v[152:153], v[158:159]
	v_fma_f64 v[158:159], s[6:7], v[120:121], v[154:155]
	v_fmac_f64_e32 v[144:145], s[6:7], v[118:119]
	v_fma_f64 v[154:155], v[120:121], s[6:7], -v[154:155]
	v_mul_f64 v[122:123], v[122:123], s[34:35]
	v_mul_f64 v[114:115], v[114:115], s[34:35]
	v_add_f64 v[144:145], v[144:145], v[156:157]
	v_add_f64 v[154:155], v[154:155], v[160:161]
	v_fma_f64 v[156:157], v[118:119], s[22:23], -v[122:123]
	v_fma_f64 v[160:161], s[22:23], v[120:121], v[114:115]
	v_fmac_f64_e32 v[122:123], s[22:23], v[118:119]
	v_fma_f64 v[114:115], v[120:121], s[22:23], -v[114:115]
	v_add_f64 v[120:121], v[150:151], -v[162:163]
	v_add_f64 v[108:109], v[122:123], v[108:109]
	v_add_f64 v[110:111], v[114:115], v[110:111]
	;; [unrolled: 1-line block ×3, first 2 shown]
	v_mul_f64 v[122:123], v[120:121], s[18:19]
	v_add_f64 v[112:113], v[148:149], -v[112:113]
	v_fma_f64 v[148:149], v[114:115], s[6:7], -v[122:123]
	v_add_f64 v[118:119], v[150:151], v[162:163]
	v_add_f64 v[126:127], v[148:149], v[126:127]
	v_mul_f64 v[148:149], v[112:113], s[18:19]
	v_fmac_f64_e32 v[122:123], s[6:7], v[114:115]
	v_add_f64 v[116:117], v[122:123], v[116:117]
	v_fma_f64 v[122:123], v[118:119], s[6:7], -v[148:149]
	v_add_f64 v[122:123], v[122:123], v[124:125]
	v_mul_f64 v[124:125], v[120:121], s[38:39]
	v_fma_f64 v[150:151], s[6:7], v[118:119], v[148:149]
	v_fma_f64 v[148:149], v[114:115], s[28:29], -v[124:125]
	v_add_f64 v[134:135], v[148:149], v[134:135]
	v_mul_f64 v[148:149], v[112:113], s[38:39]
	v_fmac_f64_e32 v[124:125], s[28:29], v[114:115]
	v_add_f64 v[124:125], v[124:125], v[128:129]
	v_fma_f64 v[128:129], v[118:119], s[28:29], -v[148:149]
	s_mov_b32 s17, 0x3fed1bb4
	v_add_f64 v[128:129], v[128:129], v[132:133]
	v_mul_f64 v[132:133], v[120:121], s[16:17]
	v_add_f64 v[130:131], v[150:151], v[130:131]
	v_fma_f64 v[150:151], s[28:29], v[118:119], v[148:149]
	v_fma_f64 v[148:149], v[114:115], s[0:1], -v[132:133]
	v_add_f64 v[142:143], v[148:149], v[142:143]
	v_mul_f64 v[148:149], v[112:113], s[16:17]
	v_fmac_f64_e32 v[132:133], s[0:1], v[114:115]
	v_add_f64 v[132:133], v[132:133], v[136:137]
	v_fma_f64 v[136:137], v[118:119], s[0:1], -v[148:149]
	v_add_f64 v[138:139], v[150:151], v[138:139]
	v_fma_f64 v[150:151], s[0:1], v[118:119], v[148:149]
	v_add_f64 v[136:137], v[136:137], v[140:141]
	v_mul_f64 v[140:141], v[120:121], s[20:21]
	v_add_f64 v[146:147], v[150:151], v[146:147]
	v_fma_f64 v[148:149], v[114:115], s[22:23], -v[140:141]
	v_mul_f64 v[150:151], v[112:113], s[20:21]
	v_fmac_f64_e32 v[140:141], s[22:23], v[114:115]
	v_add_f64 v[140:141], v[140:141], v[144:145]
	v_fma_f64 v[144:145], v[118:119], s[22:23], -v[150:151]
	v_mul_f64 v[120:121], v[120:121], s[26:27]
	v_mul_f64 v[112:113], v[112:113], s[26:27]
	v_add_f64 v[148:149], v[148:149], v[152:153]
	v_fma_f64 v[152:153], s[22:23], v[118:119], v[150:151]
	v_add_f64 v[144:145], v[144:145], v[154:155]
	v_fma_f64 v[150:151], v[114:115], s[24:25], -v[120:121]
	v_fma_f64 v[154:155], s[24:25], v[118:119], v[112:113]
	v_fmac_f64_e32 v[120:121], s[24:25], v[114:115]
	v_fma_f64 v[112:113], v[118:119], s[24:25], -v[112:113]
	v_add_f64 v[114:115], v[8:9], v[10:11]
	v_add_f64 v[8:9], v[8:9], -v[10:11]
	v_add_f64 v[110:111], v[112:113], v[110:111]
	v_add_f64 v[112:113], v[12:13], v[14:15]
	v_add_f64 v[12:13], v[12:13], -v[14:15]
	v_mul_f64 v[10:11], v[8:9], s[26:27]
	v_fma_f64 v[14:15], v[112:113], s[24:25], -v[10:11]
	v_mul_f64 v[118:119], v[12:13], s[26:27]
	v_fmac_f64_e32 v[10:11], s[24:25], v[112:113]
	v_add_f64 v[108:109], v[120:121], v[108:109]
	v_fma_f64 v[120:121], s[24:25], v[114:115], v[118:119]
	v_add_f64 v[10:11], v[10:11], v[116:117]
	v_fma_f64 v[116:117], v[114:115], s[24:25], -v[118:119]
	v_mul_f64 v[118:119], v[8:9], s[36:37]
	v_add_f64 v[14:15], v[14:15], v[126:127]
	v_add_f64 v[116:117], v[116:117], v[122:123]
	v_fma_f64 v[122:123], v[112:113], s[6:7], -v[118:119]
	v_mul_f64 v[126:127], v[12:13], s[36:37]
	v_fmac_f64_e32 v[118:119], s[6:7], v[112:113]
	v_add_f64 v[118:119], v[118:119], v[124:125]
	v_fma_f64 v[124:125], v[114:115], s[6:7], -v[126:127]
	v_add_f64 v[122:123], v[122:123], v[134:135]
	v_add_f64 v[134:135], v[124:125], v[128:129]
	v_mul_f64 v[124:125], v[8:9], s[20:21]
	v_add_f64 v[120:121], v[120:121], v[130:131]
	v_fma_f64 v[130:131], s[6:7], v[114:115], v[126:127]
	v_fma_f64 v[126:127], v[112:113], s[22:23], -v[124:125]
	v_add_f64 v[130:131], v[130:131], v[138:139]
	v_add_f64 v[138:139], v[126:127], v[142:143]
	v_mul_f64 v[126:127], v[12:13], s[20:21]
	v_fmac_f64_e32 v[124:125], s[22:23], v[112:113]
	v_fma_f64 v[128:129], s[22:23], v[114:115], v[126:127]
	v_add_f64 v[132:133], v[124:125], v[132:133]
	v_fma_f64 v[124:125], v[114:115], s[22:23], -v[126:127]
	v_add_f64 v[142:143], v[128:129], v[146:147]
	v_add_f64 v[146:147], v[124:125], v[136:137]
	v_mul_f64 v[124:125], v[8:9], s[30:31]
	v_add_f64 v[158:159], v[158:159], v[164:165]
	v_fma_f64 v[126:127], v[112:113], s[28:29], -v[124:125]
	v_add_f64 v[156:157], v[156:157], v[168:169]
	v_add_f64 v[152:153], v[152:153], v[158:159]
	;; [unrolled: 1-line block ×3, first 2 shown]
	v_mul_f64 v[126:127], v[12:13], s[30:31]
	v_fmac_f64_e32 v[124:125], s[28:29], v[112:113]
	v_add_f64 v[158:159], v[0:1], v[2:3]
	v_add_f64 v[0:1], v[0:1], -v[2:3]
	v_add_f64 v[150:151], v[150:151], v[156:157]
	v_add_f64 v[140:141], v[124:125], v[140:141]
	v_fma_f64 v[124:125], v[114:115], s[28:29], -v[126:127]
	v_mul_f64 v[8:9], v[8:9], s[16:17]
	v_add_f64 v[156:157], v[4:5], v[6:7]
	v_mul_f64 v[2:3], v[0:1], s[30:31]
	v_add_f64 v[160:161], v[160:161], v[170:171]
	v_add_f64 v[144:145], v[124:125], v[144:145]
	v_fma_f64 v[124:125], v[112:113], s[0:1], -v[8:9]
	v_mul_f64 v[12:13], v[12:13], s[16:17]
	v_fmac_f64_e32 v[8:9], s[0:1], v[112:113]
	v_add_f64 v[4:5], v[4:5], -v[6:7]
	v_fma_f64 v[6:7], v[156:157], s[28:29], -v[2:3]
	v_add_f64 v[154:155], v[154:155], v[160:161]
	v_add_f64 v[150:151], v[124:125], v[150:151]
	v_fma_f64 v[124:125], s[0:1], v[114:115], v[12:13]
	v_add_f64 v[8:9], v[8:9], v[108:109]
	v_add_f64 v[108:109], v[6:7], v[14:15]
	v_mul_f64 v[6:7], v[4:5], s[30:31]
	v_fmac_f64_e32 v[2:3], s[28:29], v[156:157]
	v_add_f64 v[154:155], v[124:125], v[154:155]
	v_add_f64 v[124:125], v[2:3], v[10:11]
	v_fma_f64 v[2:3], v[158:159], s[28:29], -v[6:7]
	v_fma_f64 v[128:129], s[28:29], v[114:115], v[126:127]
	v_add_f64 v[126:127], v[2:3], v[116:117]
	v_mul_f64 v[2:3], v[0:1], s[34:35]
	v_fma_f64 v[14:15], s[28:29], v[158:159], v[6:7]
	v_fma_f64 v[6:7], v[156:157], s[22:23], -v[2:3]
	v_add_f64 v[112:113], v[6:7], v[122:123]
	v_mul_f64 v[6:7], v[4:5], s[34:35]
	v_fmac_f64_e32 v[2:3], s[22:23], v[156:157]
	v_add_f64 v[152:153], v[128:129], v[152:153]
	v_fma_f64 v[10:11], s[22:23], v[158:159], v[6:7]
	v_add_f64 v[128:129], v[2:3], v[118:119]
	v_fma_f64 v[2:3], v[158:159], s[22:23], -v[6:7]
	v_fma_f64 v[12:13], v[114:115], s[0:1], -v[12:13]
	v_add_f64 v[114:115], v[10:11], v[130:131]
	v_add_f64 v[130:131], v[2:3], v[134:135]
	v_mul_f64 v[2:3], v[0:1], s[26:27]
	v_fma_f64 v[6:7], v[156:157], s[24:25], -v[2:3]
	v_add_f64 v[116:117], v[6:7], v[138:139]
	v_mul_f64 v[6:7], v[4:5], s[26:27]
	v_fmac_f64_e32 v[2:3], s[24:25], v[156:157]
	v_add_f64 v[136:137], v[2:3], v[132:133]
	v_fma_f64 v[2:3], v[158:159], s[24:25], -v[6:7]
	v_add_f64 v[138:139], v[2:3], v[146:147]
	v_mul_f64 v[2:3], v[0:1], s[16:17]
	v_fma_f64 v[10:11], s[24:25], v[158:159], v[6:7]
	v_fma_f64 v[6:7], v[156:157], s[0:1], -v[2:3]
	v_add_f64 v[12:13], v[12:13], v[110:111]
	v_add_f64 v[110:111], v[14:15], v[120:121]
	;; [unrolled: 1-line block ×3, first 2 shown]
	v_mul_f64 v[6:7], v[4:5], s[16:17]
	v_fmac_f64_e32 v[2:3], s[0:1], v[156:157]
	v_add_f64 v[140:141], v[2:3], v[140:141]
	v_fma_f64 v[2:3], v[158:159], s[0:1], -v[6:7]
	v_mul_f64 v[0:1], v[0:1], s[18:19]
	v_add_f64 v[118:119], v[10:11], v[142:143]
	v_add_f64 v[142:143], v[2:3], v[144:145]
	v_fma_f64 v[2:3], v[156:157], s[6:7], -v[0:1]
	v_add_f64 v[132:133], v[2:3], v[150:151]
	v_mul_f64 v[2:3], v[4:5], s[18:19]
	v_fmac_f64_e32 v[0:1], s[6:7], v[156:157]
	v_fma_f64 v[10:11], s[0:1], v[158:159], v[6:7]
	v_fma_f64 v[4:5], s[6:7], v[158:159], v[2:3]
	v_add_f64 v[144:145], v[0:1], v[8:9]
	v_fma_f64 v[0:1], v[158:159], s[6:7], -v[2:3]
	v_add_f64 v[122:123], v[10:11], v[152:153]
	v_add_f64 v[134:135], v[4:5], v[154:155]
	;; [unrolled: 1-line block ×3, first 2 shown]
	ds_write_b128 v209, v[104:107]
	ds_write_b128 v209, v[108:111] offset:1040
	ds_write_b128 v209, v[112:115] offset:2080
	;; [unrolled: 1-line block ×10, first 2 shown]
	s_waitcnt lgkmcnt(0)
	s_barrier
	s_and_saveexec_b64 s[6:7], s[4:5]
	s_cbranch_execz .LBB0_13
; %bb.12:
	v_mov_b32_e32 v221, 0
	v_lshl_add_u64 v[194:195], s[12:13], 0, v[220:221]
	s_mov_b64 s[0:1], 0x2cb0
	v_lshl_add_u64 v[2:3], v[194:195], 0, s[0:1]
	s_movk_i32 s0, 0x3000
	global_load_dwordx4 v[148:151], v[2:3], off offset:880
	global_load_dwordx4 v[152:155], v[2:3], off offset:1760
	;; [unrolled: 1-line block ×4, first 2 shown]
	v_add_co_u32_e64 v2, s[0:1], s0, v194
	v_add_co_u32_e32 v0, vcc, 0x2000, v194
	s_nop 0
	v_addc_co_u32_e64 v3, s[0:1], 0, v195, s[0:1]
	s_movk_i32 s0, 0x4000
	s_nop 0
	v_add_co_u32_e64 v4, s[0:1], s0, v194
	global_load_dwordx4 v[160:163], v[2:3], off offset:3552
	s_nop 0
	v_addc_co_u32_e64 v5, s[0:1], 0, v195, s[0:1]
	global_load_dwordx4 v[172:175], v[4:5], off offset:336
	global_load_dwordx4 v[184:187], v[4:5], off offset:1216
	v_addc_co_u32_e32 v1, vcc, 0, v195, vcc
	global_load_dwordx4 v[168:171], v[4:5], off offset:2096
	s_nop 0
	global_load_dwordx4 v[0:3], v[0:1], off offset:3248
	s_nop 0
	global_load_dwordx4 v[180:183], v[4:5], off offset:2976
	global_load_dwordx4 v[176:179], v[4:5], off offset:3856
	s_movk_i32 s0, 0x5000
	v_add_co_u32_e32 v8, vcc, s0, v194
	v_mov_b32_e32 v16, v220
	s_nop 0
	v_addc_co_u32_e32 v9, vcc, 0, v195, vcc
	global_load_dwordx4 v[4:7], v[8:9], off offset:640
	s_nop 0
	global_load_dwordx4 v[8:11], v[8:9], off offset:1520
	ds_read_b128 v[12:15], v209
	ds_read_b128 v[188:191], v209 offset:880
	ds_read_b128 v[192:195], v209 offset:1760
	;; [unrolled: 1-line block ×7, first 2 shown]
	v_mov_b32_e32 v17, v219
	ds_read_b128 v[218:221], v209 offset:7040
	s_waitcnt vmcnt(12) lgkmcnt(7)
	v_mul_f64 v[222:223], v[190:191], v[150:151]
	v_mul_f64 v[224:225], v[188:189], v[150:151]
	s_waitcnt vmcnt(11) lgkmcnt(6)
	v_mul_f64 v[226:227], v[194:195], v[154:155]
	v_mul_f64 v[150:151], v[192:193], v[154:155]
	;; [unrolled: 3-line block ×4, first 2 shown]
	v_fma_f64 v[222:223], v[188:189], v[148:149], -v[222:223]
	v_fmac_f64_e32 v[224:225], v[190:191], v[148:149]
	v_fma_f64 v[148:149], v[192:193], v[152:153], -v[226:227]
	v_fmac_f64_e32 v[150:151], v[194:195], v[152:153]
	;; [unrolled: 2-line block ×4, first 2 shown]
	s_waitcnt vmcnt(8) lgkmcnt(3)
	v_mul_f64 v[166:167], v[206:207], v[162:163]
	v_mul_f64 v[164:165], v[204:205], v[162:163]
	s_waitcnt vmcnt(7) lgkmcnt(2)
	v_mul_f64 v[190:191], v[212:213], v[174:175]
	v_mul_f64 v[188:189], v[210:211], v[174:175]
	;; [unrolled: 3-line block ×3, first 2 shown]
	s_waitcnt vmcnt(4)
	v_mul_f64 v[198:199], v[14:15], v[2:3]
	v_mul_f64 v[192:193], v[12:13], v[2:3]
	v_fma_f64 v[162:163], v[204:205], v[160:161], -v[166:167]
	v_fmac_f64_e32 v[164:165], v[206:207], v[160:161]
	ds_write_b128 v209, v[222:225] offset:880
	ds_write_b128 v209, v[148:151] offset:1760
	;; [unrolled: 1-line block ×4, first 2 shown]
	v_fma_f64 v[186:187], v[210:211], v[172:173], -v[190:191]
	v_fmac_f64_e32 v[188:189], v[212:213], v[172:173]
	v_fma_f64 v[172:173], v[214:215], v[184:185], -v[194:195]
	v_fmac_f64_e32 v[174:175], v[216:217], v[184:185]
	;; [unrolled: 2-line block ×3, first 2 shown]
	ds_write_b128 v209, v[162:165] offset:4400
	ds_write_b128 v209, v[186:189] offset:5280
	ds_write_b128 v209, v[172:175] offset:6160
	ds_write_b128 v209, v[190:193]
	s_waitcnt lgkmcnt(8)
	v_mul_f64 v[196:197], v[220:221], v[170:171]
	ds_read_b128 v[0:3], v209 offset:7920
	v_mul_f64 v[14:15], v[218:219], v[170:171]
	v_fma_f64 v[12:13], v[218:219], v[168:169], -v[196:197]
	v_fmac_f64_e32 v[14:15], v[220:221], v[168:169]
	ds_write_b128 v209, v[12:15] offset:7040
	ds_read_b128 v[12:15], v209 offset:8800
	s_waitcnt vmcnt(3) lgkmcnt(2)
	v_mul_f64 v[148:149], v[2:3], v[182:183]
	v_mul_f64 v[150:151], v[0:1], v[182:183]
	v_fma_f64 v[148:149], v[0:1], v[180:181], -v[148:149]
	v_fmac_f64_e32 v[150:151], v[2:3], v[180:181]
	ds_write_b128 v209, v[148:151] offset:7920
	s_waitcnt vmcnt(2) lgkmcnt(1)
	v_mul_f64 v[148:149], v[14:15], v[178:179]
	ds_read_b128 v[0:3], v209 offset:9680
	v_mul_f64 v[150:151], v[12:13], v[178:179]
	v_fma_f64 v[148:149], v[12:13], v[176:177], -v[148:149]
	v_fmac_f64_e32 v[150:151], v[14:15], v[176:177]
	ds_read_b128 v[12:15], v209 offset:10560
	ds_write_b128 v209, v[148:151] offset:8800
	s_waitcnt vmcnt(1) lgkmcnt(2)
	v_mul_f64 v[148:149], v[2:3], v[6:7]
	v_mul_f64 v[150:151], v[0:1], v[6:7]
	v_fma_f64 v[148:149], v[0:1], v[4:5], -v[148:149]
	v_fmac_f64_e32 v[150:151], v[2:3], v[4:5]
	s_waitcnt vmcnt(0) lgkmcnt(1)
	v_mul_f64 v[0:1], v[14:15], v[10:11]
	v_mul_f64 v[2:3], v[12:13], v[10:11]
	v_accvgpr_read_b32 v210, a0
	v_accvgpr_read_b32 v214, a2
	v_mov_b32_e32 v219, v17
	v_mov_b32_e32 v220, v16
	v_fma_f64 v[0:1], v[12:13], v[8:9], -v[0:1]
	v_fmac_f64_e32 v[2:3], v[14:15], v[8:9]
	ds_write_b128 v209, v[148:151] offset:9680
	ds_write_b128 v209, v[0:3] offset:10560
.LBB0_13:
	s_or_b64 exec, exec, s[6:7]
	s_waitcnt lgkmcnt(0)
	s_barrier
	s_and_saveexec_b64 s[0:1], s[4:5]
	s_cbranch_execz .LBB0_15
; %bb.14:
	ds_read_b128 v[104:107], v209
	ds_read_b128 v[108:111], v209 offset:880
	ds_read_b128 v[112:115], v209 offset:1760
	;; [unrolled: 1-line block ×12, first 2 shown]
.LBB0_15:
	s_or_b64 exec, exec, s[0:1]
	s_mov_b32 s46, 0x4267c47c
	s_mov_b32 s20, 0xebaa3ed8
	s_waitcnt lgkmcnt(0)
	v_add_f64 v[216:217], v[110:111], v[102:103]
	v_add_f64 v[176:177], v[110:111], -v[102:103]
	s_mov_b32 s6, 0xe00740e9
	s_mov_b32 s47, 0xbfddbe06
	;; [unrolled: 1-line block ×5, first 2 shown]
	v_add_f64 v[198:199], v[108:109], v[100:101]
	v_add_f64 v[178:179], v[108:109], -v[100:101]
	s_mov_b32 s7, 0x3fec55a7
	v_mul_f64 v[16:17], v[176:177], s[46:47]
	s_mov_b32 s16, 0x1ea71119
	s_mov_b32 s19, 0xbfea55e2
	;; [unrolled: 1-line block ×3, first 2 shown]
	v_mul_f64 v[212:213], v[216:217], s[20:21]
	v_add_f64 v[188:189], v[114:115], -v[98:99]
	v_mul_f64 v[18:19], v[216:217], s[6:7]
	v_fma_f64 v[0:1], v[198:199], s[6:7], -v[16:17]
	s_mov_b32 s17, 0x3fe22d96
	v_fma_f64 v[10:11], s[26:27], v[178:179], v[212:213]
	v_add_f64 v[222:223], v[112:113], v[96:97]
	v_add_f64 v[240:241], v[114:115], v[98:99]
	v_mul_f64 v[20:21], v[188:189], s[18:19]
	s_mov_b32 s28, 0x2ef20147
	v_add_f64 v[0:1], v[104:105], v[0:1]
	v_fma_f64 v[2:3], s[46:47], v[178:179], v[18:19]
	v_mul_f64 v[22:23], v[176:177], s[18:19]
	v_add_f64 v[12:13], v[106:107], v[10:11]
	v_add_f64 v[10:11], v[112:113], -v[96:97]
	v_mul_f64 v[24:25], v[240:241], s[16:17]
	v_fma_f64 v[14:15], v[222:223], s[16:17], -v[20:21]
	s_mov_b32 s22, 0xb2365da1
	s_mov_b32 s29, 0xbfedeba7
	v_add_f64 v[2:3], v[106:107], v[2:3]
	v_mul_f64 v[26:27], v[216:217], s[16:17]
	v_fma_f64 v[4:5], v[198:199], s[16:17], -v[22:23]
	v_add_f64 v[14:15], v[14:15], v[0:1]
	v_fma_f64 v[0:1], s[18:19], v[10:11], v[24:25]
	s_mov_b32 s23, 0xbfd6b1d8
	v_mul_f64 v[168:169], v[188:189], s[28:29]
	v_add_f64 v[4:5], v[104:105], v[4:5]
	v_fma_f64 v[6:7], s[18:19], v[178:179], v[26:27]
	v_mul_f64 v[170:171], v[176:177], s[26:27]
	v_add_f64 v[2:3], v[0:1], v[2:3]
	v_mul_f64 v[174:175], v[240:241], s[22:23]
	v_fma_f64 v[0:1], v[222:223], s[22:23], -v[168:169]
	s_mov_b32 s24, 0x93053d00
	s_mov_b32 s43, 0xbfcea1e5
	;; [unrolled: 1-line block ×3, first 2 shown]
	v_add_f64 v[6:7], v[106:107], v[6:7]
	v_fma_f64 v[8:9], v[198:199], s[20:21], -v[170:171]
	v_add_f64 v[148:149], v[0:1], v[4:5]
	v_fma_f64 v[0:1], s[28:29], v[10:11], v[174:175]
	s_mov_b32 s25, 0xbfef11f4
	v_mul_f64 v[230:231], v[188:189], s[42:43]
	v_add_f64 v[8:9], v[104:105], v[8:9]
	v_add_f64 v[6:7], v[0:1], v[6:7]
	v_mul_f64 v[4:5], v[240:241], s[24:25]
	v_fma_f64 v[0:1], v[222:223], s[24:25], -v[230:231]
	v_add_f64 v[8:9], v[0:1], v[8:9]
	v_fma_f64 v[0:1], s[42:43], v[10:11], v[4:5]
	v_add_f64 v[196:197], v[118:119], -v[126:127]
	v_accvgpr_write_b32 a45, v5
	v_add_f64 v[12:13], v[0:1], v[12:13]
	v_add_f64 v[244:245], v[116:117], v[124:125]
	;; [unrolled: 1-line block ×3, first 2 shown]
	v_mul_f64 v[166:167], v[196:197], s[26:27]
	v_accvgpr_write_b32 a44, v4
	v_add_f64 v[4:5], v[116:117], -v[124:125]
	v_mul_f64 v[172:173], v[0:1], s[20:21]
	v_fma_f64 v[150:151], v[244:245], s[20:21], -v[166:167]
	v_add_f64 v[14:15], v[150:151], v[14:15]
	v_fma_f64 v[150:151], s[26:27], v[4:5], v[172:173]
	v_mul_f64 v[226:227], v[196:197], s[42:43]
	v_add_f64 v[2:3], v[150:151], v[2:3]
	v_mul_f64 v[232:233], v[0:1], s[24:25]
	v_fma_f64 v[150:151], v[244:245], s[24:25], -v[226:227]
	v_add_f64 v[148:149], v[150:151], v[148:149]
	v_fma_f64 v[150:151], s[42:43], v[4:5], v[232:233]
	s_mov_b32 s39, 0x3fedeba7
	s_mov_b32 s38, s28
	v_add_f64 v[6:7], v[150:151], v[6:7]
	v_mul_f64 v[150:151], v[196:197], s[38:39]
	v_accvgpr_write_b32 a50, v150
	v_mul_f64 v[238:239], v[0:1], s[22:23]
	v_accvgpr_write_b32 a51, v151
	v_fma_f64 v[150:151], v[244:245], s[22:23], -v[150:151]
	v_add_f64 v[162:163], v[122:123], -v[130:131]
	v_add_f64 v[150:151], v[150:151], v[8:9]
	v_fma_f64 v[8:9], s[38:39], v[4:5], v[238:239]
	v_add_f64 v[192:193], v[120:121], v[128:129]
	v_add_f64 v[184:185], v[122:123], v[130:131]
	v_mul_f64 v[224:225], v[162:163], s[28:29]
	v_add_f64 v[12:13], v[8:9], v[12:13]
	v_add_f64 v[8:9], v[120:121], -v[128:129]
	v_mul_f64 v[228:229], v[184:185], s[22:23]
	v_fma_f64 v[152:153], v[192:193], s[22:23], -v[224:225]
	s_mov_b32 s40, 0x24c2f84
	v_add_f64 v[152:153], v[152:153], v[14:15]
	v_fma_f64 v[14:15], s[28:29], v[8:9], v[228:229]
	s_mov_b32 s41, 0x3fe5384d
	v_add_f64 v[2:3], v[14:15], v[2:3]
	s_mov_b32 s30, 0xd0032e0c
	v_mul_f64 v[14:15], v[162:163], s[40:41]
	s_mov_b32 s31, 0xbfe7f3cc
	v_accvgpr_write_b32 a49, v15
	v_mul_f64 v[236:237], v[184:185], s[30:31]
	v_accvgpr_write_b32 a48, v14
	v_fma_f64 v[14:15], v[192:193], s[30:31], -v[14:15]
	s_mov_b32 s35, 0x3fddbe06
	s_mov_b32 s34, s46
	v_add_f64 v[148:149], v[14:15], v[148:149]
	v_fma_f64 v[14:15], s[40:41], v[8:9], v[236:237]
	v_mul_f64 v[250:251], v[162:163], s[34:35]
	v_add_f64 v[6:7], v[14:15], v[6:7]
	v_mul_f64 v[190:191], v[184:185], s[6:7]
	v_fma_f64 v[14:15], v[192:193], s[6:7], -v[250:251]
	v_add_f64 v[204:205], v[134:135], -v[138:139]
	s_mov_b32 s37, 0xbfe5384d
	s_mov_b32 s36, s40
	v_add_f64 v[150:151], v[14:15], v[150:151]
	v_fma_f64 v[14:15], s[34:35], v[8:9], v[190:191]
	v_mul_f64 v[156:157], v[204:205], s[36:37]
	v_add_f64 v[154:155], v[14:15], v[12:13]
	v_add_f64 v[12:13], v[132:133], v[136:137]
	;; [unrolled: 1-line block ×3, first 2 shown]
	v_accvgpr_write_b32 a46, v156
	v_add_f64 v[14:15], v[132:133], -v[136:137]
	v_mul_f64 v[234:235], v[200:201], s[30:31]
	v_accvgpr_write_b32 a47, v157
	v_fma_f64 v[156:157], v[12:13], s[30:31], -v[156:157]
	s_mov_b32 s45, 0x3fefc445
	s_mov_b32 s44, s26
	v_add_f64 v[152:153], v[156:157], v[152:153]
	v_fma_f64 v[156:157], s[36:37], v[14:15], v[234:235]
	v_mul_f64 v[246:247], v[204:205], s[44:45]
	v_add_f64 v[158:159], v[156:157], v[2:3]
	v_mul_f64 v[254:255], v[200:201], s[20:21]
	v_fma_f64 v[2:3], v[12:13], s[20:21], -v[246:247]
	v_add_f64 v[148:149], v[2:3], v[148:149]
	v_fma_f64 v[2:3], s[44:45], v[14:15], v[254:255]
	v_add_f64 v[160:161], v[2:3], v[6:7]
	v_mul_f64 v[2:3], v[204:205], s[18:19]
	v_mul_f64 v[180:181], v[200:201], s[16:17]
	v_fma_f64 v[6:7], v[12:13], s[16:17], -v[2:3]
	v_add_f64 v[206:207], v[146:147], -v[142:143]
	v_add_f64 v[150:151], v[6:7], v[150:151]
	v_fma_f64 v[6:7], s[18:19], v[14:15], v[180:181]
	v_add_f64 v[186:187], v[144:145], v[140:141]
	v_add_f64 v[202:203], v[146:147], v[142:143]
	v_mul_f64 v[242:243], v[206:207], s[42:43]
	v_add_f64 v[164:165], v[6:7], v[154:155]
	v_add_f64 v[194:195], v[144:145], -v[140:141]
	v_mul_f64 v[248:249], v[202:203], s[24:25]
	v_fma_f64 v[6:7], v[186:187], s[24:25], -v[242:243]
	v_add_f64 v[156:157], v[6:7], v[152:153]
	v_fma_f64 v[6:7], s[42:43], v[194:195], v[248:249]
	v_mul_f64 v[252:253], v[206:207], s[34:35]
	v_add_f64 v[158:159], v[6:7], v[158:159]
	v_mul_f64 v[6:7], v[202:203], s[6:7]
	v_fma_f64 v[152:153], v[186:187], s[6:7], -v[252:253]
	v_add_f64 v[152:153], v[152:153], v[148:149]
	v_fma_f64 v[148:149], s[34:35], v[194:195], v[6:7]
	v_mul_f64 v[182:183], v[206:207], s[36:37]
	v_add_f64 v[154:155], v[148:149], v[160:161]
	v_mul_f64 v[160:161], v[202:203], s[30:31]
	v_fma_f64 v[148:149], v[186:187], s[30:31], -v[182:183]
	v_add_f64 v[148:149], v[148:149], v[150:151]
	v_fma_f64 v[150:151], s[36:37], v[194:195], v[160:161]
	v_add_f64 v[150:151], v[150:151], v[164:165]
	s_barrier
	s_and_saveexec_b64 s[0:1], s[4:5]
	s_cbranch_execz .LBB0_17
; %bb.16:
	v_mul_f64 v[164:165], v[198:199], s[6:7]
	v_accvgpr_write_b32 a56, v164
	v_accvgpr_write_b32 a57, v165
	v_mul_f64 v[164:165], v[178:179], s[46:47]
	v_accvgpr_write_b32 a58, v164
	v_accvgpr_write_b32 a59, v165
	;; [unrolled: 3-line block ×8, first 2 shown]
	v_mul_f64 v[164:165], v[4:5], s[42:43]
	v_mul_f64 v[214:215], v[10:11], s[34:35]
	v_accvgpr_write_b32 a69, v225
	v_fma_f64 v[224:225], s[24:25], v[216:217], v[220:221]
	v_accvgpr_write_b32 a81, v21
	v_accvgpr_write_b32 a72, v164
	s_mov_b32 s47, 0x3fea55e2
	s_mov_b32 s46, s18
	v_accvgpr_write_b32 a70, v172
	v_mul_f64 v[210:211], v[4:5], s[36:37]
	v_accvgpr_write_b32 a98, v212
	v_accvgpr_write_b32 a1, v219
	v_fma_f64 v[218:219], s[6:7], v[240:241], v[214:215]
	v_add_f64 v[224:225], v[106:107], v[224:225]
	v_accvgpr_write_b32 a77, v17
	v_accvgpr_write_b32 a80, v20
	v_mul_f64 v[20:21], v[176:177], s[42:43]
	v_accvgpr_write_b32 a97, v23
	v_accvgpr_write_b32 a73, v165
	v_mul_f64 v[164:165], v[194:195], s[42:43]
	v_accvgpr_write_b32 a78, v168
	v_accvgpr_write_b32 a71, v173
	v_mul_f64 v[172:173], v[8:9], s[46:47]
	v_accvgpr_write_b32 a90, v174
	v_accvgpr_write_b32 a99, v213
	v_fma_f64 v[212:213], s[30:31], v[0:1], v[210:211]
	v_add_f64 v[218:219], v[218:219], v[224:225]
	v_accvgpr_write_b32 a94, v226
	v_accvgpr_write_b32 a76, v16
	v_mul_f64 v[16:17], v[188:189], s[34:35]
	v_accvgpr_write_b32 a85, v19
	v_accvgpr_write_b32 a96, v22
	v_fma_f64 v[22:23], v[198:199], s[24:25], -v[20:21]
	v_accvgpr_write_b32 a66, v164
	v_accvgpr_write_b32 a79, v169
	v_mul_f64 v[168:169], v[14:15], s[28:29]
	v_accvgpr_write_b32 a92, v170
	v_accvgpr_write_b32 a91, v175
	v_fma_f64 v[174:175], s[16:17], v[184:185], v[172:173]
	v_add_f64 v[212:213], v[212:213], v[218:219]
	v_accvgpr_write_b32 a95, v227
	v_mul_f64 v[226:227], v[196:197], s[36:37]
	v_accvgpr_write_b32 a88, v228
	v_accvgpr_write_b32 a84, v18
	v_fma_f64 v[18:19], v[222:223], s[6:7], -v[16:17]
	v_add_f64 v[22:23], v[104:105], v[22:23]
	v_accvgpr_write_b32 a67, v165
	v_mul_f64 v[164:165], v[194:195], s[44:45]
	v_accvgpr_write_b32 a62, v166
	v_accvgpr_write_b32 a93, v171
	v_fma_f64 v[170:171], s[22:23], v[200:201], v[168:169]
	v_add_f64 v[174:175], v[174:175], v[212:213]
	v_mul_f64 v[218:219], v[162:163], s[46:47]
	v_accvgpr_write_b32 a89, v229
	v_fma_f64 v[228:229], v[244:245], s[30:31], -v[226:227]
	v_add_f64 v[18:19], v[18:19], v[22:23]
	v_accvgpr_write_b32 a63, v167
	v_fma_f64 v[166:167], s[20:21], v[202:203], v[164:165]
	v_add_f64 v[170:171], v[170:171], v[174:175]
	v_accvgpr_write_b32 a55, v39
	v_mul_f64 v[174:175], v[204:205], s[28:29]
	v_fma_f64 v[224:225], v[192:193], s[16:17], -v[218:219]
	v_add_f64 v[18:19], v[228:229], v[18:19]
	v_accvgpr_write_b32 a54, v38
	v_accvgpr_write_b32 a53, v37
	;; [unrolled: 1-line block ×3, first 2 shown]
	v_add_f64 v[38:39], v[166:167], v[170:171]
	v_mul_f64 v[170:171], v[206:207], s[44:45]
	v_fma_f64 v[212:213], v[12:13], s[22:23], -v[174:175]
	v_add_f64 v[18:19], v[224:225], v[18:19]
	v_fma_f64 v[166:167], v[186:187], s[20:21], -v[170:171]
	v_add_f64 v[18:19], v[212:213], v[18:19]
	v_add_f64 v[36:37], v[166:167], v[18:19]
	v_fma_f64 v[18:19], v[202:203], s[20:21], -v[164:165]
	v_fma_f64 v[164:165], v[184:185], s[16:17], -v[172:173]
	;; [unrolled: 1-line block ×5, first 2 shown]
	v_add_f64 v[172:173], v[106:107], v[172:173]
	v_fma_f64 v[166:167], v[0:1], s[30:31], -v[210:211]
	v_add_f64 v[168:169], v[168:169], v[172:173]
	v_add_f64 v[166:167], v[166:167], v[168:169]
	;; [unrolled: 1-line block ×4, first 2 shown]
	v_fmac_f64_e32 v[20:21], s[24:25], v[198:199]
	v_add_f64 v[166:167], v[18:19], v[22:23]
	v_fmac_f64_e32 v[16:17], s[6:7], v[222:223]
	v_add_f64 v[18:19], v[104:105], v[20:21]
	;; [unrolled: 2-line block ×4, first 2 shown]
	v_mul_f64 v[214:215], v[178:179], s[36:37]
	v_fmac_f64_e32 v[174:175], s[22:23], v[12:13]
	v_add_f64 v[16:17], v[218:219], v[16:17]
	v_mul_f64 v[210:211], v[10:11], s[44:45]
	v_fma_f64 v[218:219], s[30:31], v[216:217], v[214:215]
	v_fma_f64 v[214:215], v[216:217], s[30:31], -v[214:215]
	v_fmac_f64_e32 v[170:171], s[20:21], v[186:187]
	v_add_f64 v[16:17], v[174:175], v[16:17]
	s_mov_b32 s43, 0x3fcea1e5
	v_mul_f64 v[174:175], v[4:5], s[18:19]
	v_fma_f64 v[212:213], s[20:21], v[240:241], v[210:211]
	v_fma_f64 v[210:211], v[240:241], s[20:21], -v[210:211]
	v_add_f64 v[214:215], v[106:107], v[214:215]
	v_add_f64 v[164:165], v[170:171], v[16:17]
	v_mul_f64 v[172:173], v[8:9], s[42:43]
	v_fma_f64 v[170:171], s[16:17], v[0:1], v[174:175]
	v_add_f64 v[218:219], v[106:107], v[218:219]
	v_add_f64 v[210:211], v[210:211], v[214:215]
	v_fma_f64 v[174:175], v[0:1], s[16:17], -v[174:175]
	v_mul_f64 v[20:21], v[14:15], s[34:35]
	v_fma_f64 v[168:169], s[24:25], v[184:185], v[172:173]
	v_add_f64 v[212:213], v[212:213], v[218:219]
	v_add_f64 v[174:175], v[174:175], v[210:211]
	v_fma_f64 v[172:173], v[184:185], s[24:25], -v[172:173]
	v_mul_f64 v[16:17], v[194:195], s[28:29]
	v_fma_f64 v[22:23], s[6:7], v[200:201], v[20:21]
	v_add_f64 v[170:171], v[170:171], v[212:213]
	v_mul_f64 v[224:225], v[176:177], s[36:37]
	v_fma_f64 v[20:21], v[200:201], s[6:7], -v[20:21]
	v_add_f64 v[172:173], v[172:173], v[174:175]
	v_fma_f64 v[18:19], s[22:23], v[202:203], v[16:17]
	v_add_f64 v[168:169], v[168:169], v[170:171]
	v_mul_f64 v[220:221], v[188:189], s[44:45]
	v_fma_f64 v[226:227], v[198:199], s[30:31], -v[224:225]
	v_fma_f64 v[16:17], v[202:203], s[22:23], -v[16:17]
	v_add_f64 v[20:21], v[20:21], v[172:173]
	v_fmac_f64_e32 v[224:225], s[30:31], v[198:199]
	v_add_f64 v[22:23], v[22:23], v[168:169]
	v_mul_f64 v[218:219], v[196:197], s[18:19]
	v_fma_f64 v[168:169], v[222:223], s[20:21], -v[220:221]
	v_add_f64 v[226:227], v[104:105], v[226:227]
	v_add_f64 v[174:175], v[16:17], v[20:21]
	v_fmac_f64_e32 v[220:221], s[20:21], v[222:223]
	v_add_f64 v[16:17], v[104:105], v[224:225]
	v_mul_f64 v[224:225], v[178:179], s[28:29]
	v_mul_f64 v[212:213], v[162:163], s[42:43]
	v_add_f64 v[168:169], v[168:169], v[226:227]
	v_fma_f64 v[226:227], v[244:245], s[16:17], -v[218:219]
	v_mul_f64 v[228:229], v[10:11], s[18:19]
	v_mul_f64 v[210:211], v[10:11], s[28:29]
	v_fmac_f64_e32 v[218:219], s[16:17], v[244:245]
	v_add_f64 v[16:17], v[220:221], v[16:17]
	v_mul_f64 v[10:11], v[10:11], s[40:41]
	v_fma_f64 v[178:179], s[22:23], v[216:217], v[224:225]
	v_add_f64 v[170:171], v[18:19], v[22:23]
	v_mul_f64 v[22:23], v[204:205], s[34:35]
	v_add_f64 v[168:169], v[226:227], v[168:169]
	v_fma_f64 v[226:227], v[192:193], s[24:25], -v[212:213]
	v_fmac_f64_e32 v[212:213], s[24:25], v[192:193]
	v_add_f64 v[16:17], v[218:219], v[16:17]
	v_mul_f64 v[218:219], v[4:5], s[34:35]
	v_fma_f64 v[220:221], s[30:31], v[240:241], v[10:11]
	v_add_f64 v[178:179], v[106:107], v[178:179]
	v_mul_f64 v[18:19], v[206:207], s[28:29]
	v_add_f64 v[168:169], v[226:227], v[168:169]
	v_fma_f64 v[226:227], v[12:13], s[6:7], -v[22:23]
	v_fmac_f64_e32 v[22:23], s[6:7], v[12:13]
	v_add_f64 v[16:17], v[212:213], v[16:17]
	v_mul_f64 v[212:213], v[8:9], s[26:27]
	v_add_f64 v[178:179], v[220:221], v[178:179]
	v_fma_f64 v[220:221], s[6:7], v[0:1], v[218:219]
	v_add_f64 v[168:169], v[226:227], v[168:169]
	v_fma_f64 v[226:227], v[186:187], s[22:23], -v[18:19]
	v_fmac_f64_e32 v[18:19], s[22:23], v[186:187]
	v_add_f64 v[16:17], v[22:23], v[16:17]
	v_mul_f64 v[20:21], v[14:15], s[42:43]
	v_add_f64 v[178:179], v[220:221], v[178:179]
	v_fma_f64 v[220:221], s[20:21], v[184:185], v[212:213]
	v_add_f64 v[172:173], v[18:19], v[16:17]
	v_mul_f64 v[16:17], v[194:195], s[46:47]
	v_fma_f64 v[22:23], s[24:25], v[200:201], v[20:21]
	v_add_f64 v[178:179], v[220:221], v[178:179]
	v_fma_f64 v[216:217], v[216:217], s[22:23], -v[224:225]
	v_fma_f64 v[18:19], s[16:17], v[202:203], v[16:17]
	v_add_f64 v[22:23], v[22:23], v[178:179]
	v_fma_f64 v[10:11], v[240:241], s[30:31], -v[10:11]
	v_add_f64 v[216:217], v[106:107], v[216:217]
	v_add_f64 v[178:179], v[18:19], v[22:23]
	v_mul_f64 v[18:19], v[206:207], s[46:47]
	v_mul_f64 v[206:207], v[176:177], s[28:29]
	v_fma_f64 v[0:1], v[0:1], s[6:7], -v[218:219]
	v_add_f64 v[10:11], v[10:11], v[216:217]
	v_mul_f64 v[188:189], v[188:189], s[40:41]
	v_fma_f64 v[176:177], v[198:199], s[22:23], -v[206:207]
	v_fma_f64 v[184:185], v[184:185], s[20:21], -v[212:213]
	v_add_f64 v[0:1], v[0:1], v[10:11]
	v_accvgpr_write_b32 a39, v31
	v_fmac_f64_e32 v[206:207], s[22:23], v[198:199]
	v_mul_f64 v[22:23], v[204:205], s[42:43]
	v_mul_f64 v[196:197], v[196:197], s[34:35]
	v_fma_f64 v[204:205], v[222:223], s[30:31], -v[188:189]
	v_add_f64 v[176:177], v[104:105], v[176:177]
	v_fma_f64 v[20:21], v[200:201], s[24:25], -v[20:21]
	v_mul_f64 v[240:241], v[8:9], s[28:29]
	v_mul_f64 v[216:217], v[8:9], s[40:41]
	v_accvgpr_write_b32 a38, v30
	v_accvgpr_write_b32 a37, v29
	;; [unrolled: 1-line block ×3, first 2 shown]
	v_mov_b64_e32 v[28:29], v[26:27]
	v_mul_f64 v[26:27], v[8:9], s[34:35]
	v_add_f64 v[0:1], v[184:185], v[0:1]
	v_fmac_f64_e32 v[188:189], s[30:31], v[222:223]
	v_add_f64 v[8:9], v[104:105], v[206:207]
	v_mul_f64 v[162:163], v[162:163], s[26:27]
	v_add_f64 v[176:177], v[204:205], v[176:177]
	v_fma_f64 v[204:205], v[244:245], s[6:7], -v[196:197]
	v_fma_f64 v[16:17], v[202:203], s[16:17], -v[16:17]
	v_add_f64 v[0:1], v[20:21], v[0:1]
	v_fmac_f64_e32 v[196:197], s[6:7], v[244:245]
	v_add_f64 v[8:9], v[188:189], v[8:9]
	v_add_f64 v[176:177], v[204:205], v[176:177]
	v_fma_f64 v[204:205], v[192:193], s[20:21], -v[162:163]
	v_fmac_f64_e32 v[162:163], s[20:21], v[192:193]
	v_add_f64 v[10:11], v[16:17], v[0:1]
	v_add_f64 v[0:1], v[196:197], v[8:9]
	;; [unrolled: 1-line block ×3, first 2 shown]
	v_fma_f64 v[204:205], v[12:13], s[24:25], -v[22:23]
	v_fmac_f64_e32 v[22:23], s[24:25], v[12:13]
	v_add_f64 v[0:1], v[162:163], v[0:1]
	v_add_f64 v[176:177], v[204:205], v[176:177]
	v_fma_f64 v[204:205], v[186:187], s[16:17], -v[18:19]
	v_fmac_f64_e32 v[18:19], s[16:17], v[186:187]
	v_add_f64 v[0:1], v[22:23], v[0:1]
	v_add_f64 v[8:9], v[18:19], v[0:1]
	v_accvgpr_read_b32 v18, a44
	v_accvgpr_read_b32 v22, a86
	;; [unrolled: 1-line block ×4, first 2 shown]
	v_add_f64 v[16:17], v[190:191], -v[26:27]
	v_add_f64 v[18:19], v[18:19], -v[22:23]
	v_accvgpr_read_b32 v22, a82
	v_accvgpr_read_b32 v26, a98
	;; [unrolled: 1-line block ×4, first 2 shown]
	v_add_f64 v[22:23], v[26:27], -v[22:23]
	v_mul_f64 v[202:203], v[4:5], s[26:27]
	v_mul_f64 v[4:5], v[4:5], s[38:39]
	v_add_f64 v[22:23], v[106:107], v[22:23]
	v_add_f64 v[4:5], v[238:239], -v[4:5]
	v_add_f64 v[18:19], v[18:19], v[22:23]
	v_mul_f64 v[220:221], v[244:245], s[20:21]
	v_mul_f64 v[200:201], v[244:245], s[24:25]
	;; [unrolled: 1-line block ×6, first 2 shown]
	v_add_f64 v[4:5], v[4:5], v[18:19]
	v_accvgpr_read_b32 v18, a74
	v_accvgpr_read_b32 v22, a92
	v_add_f64 v[14:15], v[180:181], -v[14:15]
	v_add_f64 v[4:5], v[16:17], v[4:5]
	v_accvgpr_read_b32 v19, a75
	v_accvgpr_read_b32 v23, a93
	v_add_f64 v[176:177], v[204:205], v[176:177]
	v_mul_f64 v[204:205], v[222:223], s[24:25]
	v_add_f64 v[4:5], v[14:15], v[4:5]
	v_accvgpr_read_b32 v14, a50
	v_add_f64 v[18:19], v[18:19], v[22:23]
	v_accvgpr_write_b32 a43, v35
	v_accvgpr_read_b32 v15, a51
	v_add_f64 v[16:17], v[204:205], v[230:231]
	v_add_f64 v[18:19], v[104:105], v[18:19]
	v_mul_f64 v[218:219], v[192:193], s[22:23]
	v_mul_f64 v[224:225], v[192:193], s[30:31]
	v_accvgpr_write_b32 a42, v34
	v_accvgpr_write_b32 a41, v33
	;; [unrolled: 1-line block ×3, first 2 shown]
	v_mov_b64_e32 v[32:33], v[24:25]
	v_mul_f64 v[24:25], v[192:193], s[6:7]
	v_mul_f64 v[184:185], v[12:13], s[30:31]
	;; [unrolled: 1-line block ×4, first 2 shown]
	v_add_f64 v[14:15], v[212:213], v[14:15]
	v_add_f64 v[16:17], v[16:17], v[18:19]
	v_accvgpr_read_b32 v18, a64
	v_add_f64 v[2:3], v[12:13], v[2:3]
	v_add_f64 v[12:13], v[24:25], v[250:251]
	;; [unrolled: 1-line block ×3, first 2 shown]
	v_accvgpr_read_b32 v16, a90
	v_accvgpr_read_b32 v19, a65
	v_add_f64 v[12:13], v[12:13], v[14:15]
	v_accvgpr_read_b32 v14, a72
	v_accvgpr_read_b32 v17, a91
	v_add_f64 v[18:19], v[28:29], -v[18:19]
	v_mul_f64 v[188:189], v[194:195], s[34:35]
	v_mul_f64 v[194:195], v[194:195], s[36:37]
	v_accvgpr_read_b32 v15, a73
	v_add_f64 v[16:17], v[16:17], -v[210:211]
	v_add_f64 v[18:19], v[106:107], v[18:19]
	v_add_f64 v[168:169], v[226:227], v[168:169]
	v_mul_f64 v[226:227], v[222:223], s[16:17]
	v_mul_f64 v[214:215], v[222:223], s[22:23]
	;; [unrolled: 1-line block ×5, first 2 shown]
	v_add_f64 v[0:1], v[160:161], -v[194:195]
	v_add_f64 v[14:15], v[232:233], -v[14:15]
	v_add_f64 v[16:17], v[16:17], v[18:19]
	v_accvgpr_read_b32 v22, a60
	v_accvgpr_read_b32 v24, a96
	v_add_f64 v[4:5], v[0:1], v[4:5]
	v_add_f64 v[0:1], v[186:187], v[182:183]
	;; [unrolled: 1-line block ×3, first 2 shown]
	v_add_f64 v[12:13], v[236:237], -v[216:217]
	v_add_f64 v[14:15], v[14:15], v[16:17]
	v_accvgpr_read_b32 v18, a78
	v_accvgpr_read_b32 v23, a61
	;; [unrolled: 1-line block ×3, first 2 shown]
	v_add_f64 v[2:3], v[0:1], v[2:3]
	v_add_f64 v[0:1], v[6:7], -v[188:189]
	v_add_f64 v[6:7], v[254:255], -v[244:245]
	v_add_f64 v[12:13], v[12:13], v[14:15]
	v_accvgpr_read_b32 v16, a94
	v_accvgpr_read_b32 v19, a79
	v_add_f64 v[22:23], v[22:23], v[24:25]
	v_add_f64 v[6:7], v[6:7], v[12:13]
	v_accvgpr_read_b32 v12, a48
	v_accvgpr_read_b32 v17, a95
	v_add_f64 v[18:19], v[214:215], v[18:19]
	v_add_f64 v[22:23], v[104:105], v[22:23]
	v_accvgpr_read_b32 v13, a49
	v_add_f64 v[16:17], v[200:201], v[16:17]
	v_add_f64 v[18:19], v[18:19], v[22:23]
	;; [unrolled: 1-line block ×4, first 2 shown]
	v_accvgpr_read_b32 v22, a58
	v_accvgpr_read_b32 v24, a84
	v_add_f64 v[14:15], v[0:1], v[6:7]
	v_add_f64 v[6:7], v[192:193], v[246:247]
	;; [unrolled: 1-line block ×3, first 2 shown]
	v_accvgpr_read_b32 v23, a59
	v_accvgpr_read_b32 v25, a85
	v_add_f64 v[0:1], v[198:199], v[252:253]
	v_add_f64 v[6:7], v[6:7], v[12:13]
	v_accvgpr_read_b32 v18, a70
	v_add_f64 v[22:23], v[24:25], -v[22:23]
	v_add_f64 v[12:13], v[0:1], v[6:7]
	v_add_f64 v[6:7], v[234:235], -v[20:21]
	v_accvgpr_read_b32 v16, a88
	v_accvgpr_read_b32 v19, a71
	v_add_f64 v[20:21], v[32:33], -v[228:229]
	v_add_f64 v[22:23], v[106:107], v[22:23]
	v_accvgpr_read_b32 v17, a89
	v_add_f64 v[18:19], v[18:19], -v[202:203]
	v_add_f64 v[20:21], v[20:21], v[22:23]
	v_accvgpr_read_b32 v22, a56
	v_accvgpr_read_b32 v24, a76
	;; [unrolled: 1-line block ×3, first 2 shown]
	v_add_f64 v[16:17], v[16:17], -v[240:241]
	v_add_f64 v[18:19], v[18:19], v[20:21]
	v_accvgpr_read_b32 v20, a80
	v_accvgpr_read_b32 v23, a57
	;; [unrolled: 1-line block ×4, first 2 shown]
	v_add_f64 v[16:17], v[16:17], v[18:19]
	v_accvgpr_read_b32 v18, a62
	v_accvgpr_read_b32 v21, a81
	v_add_f64 v[22:23], v[22:23], v[24:25]
	v_add_f64 v[0:1], v[248:249], -v[0:1]
	v_add_f64 v[6:7], v[6:7], v[16:17]
	v_accvgpr_read_b32 v16, a68
	v_accvgpr_read_b32 v19, a63
	v_add_f64 v[20:21], v[226:227], v[20:21]
	v_add_f64 v[22:23], v[104:105], v[22:23]
	;; [unrolled: 1-line block ×3, first 2 shown]
	v_accvgpr_read_b32 v6, a46
	v_accvgpr_read_b32 v17, a69
	v_add_f64 v[18:19], v[220:221], v[18:19]
	v_add_f64 v[20:21], v[20:21], v[22:23]
	v_accvgpr_read_b32 v7, a47
	v_add_f64 v[16:17], v[218:219], v[16:17]
	v_add_f64 v[18:19], v[18:19], v[20:21]
	;; [unrolled: 1-line block ×30, first 2 shown]
	v_accvgpr_read_b32 v219, a1
	v_add_f64 v[96:97], v[0:1], v[100:101]
	v_accvgpr_read_b32 v0, a3
	v_lshl_add_u32 v0, v0, 4, v219
	v_accvgpr_read_b32 v28, a36
	v_accvgpr_read_b32 v32, a40
	ds_write_b128 v0, v[96:99]
	ds_write_b128 v0, v[160:163] offset:16
	ds_write_b128 v0, v[12:15] offset:32
	;; [unrolled: 1-line block ×7, first 2 shown]
	v_accvgpr_read_b32 v36, a52
	v_accvgpr_read_b32 v210, a0
	;; [unrolled: 1-line block ×13, first 2 shown]
	ds_write_b128 v0, v[168:171] offset:128
	ds_write_b128 v0, v[176:179] offset:144
	ds_write_b128 v0, v[148:151] offset:160
	ds_write_b128 v0, v[152:155] offset:176
	ds_write_b128 v0, v[156:159] offset:192
.LBB0_17:
	s_or_b64 exec, exec, s[0:1]
	s_waitcnt lgkmcnt(0)
	s_barrier
	ds_read_b128 v[100:103], v208
	ds_read_b128 v[96:99], v208 offset:1040
	ds_read_b128 v[132:135], v208 offset:2288
	;; [unrolled: 1-line block ×9, first 2 shown]
	s_and_saveexec_b64 s[0:1], s[2:3]
	s_cbranch_execz .LBB0_19
; %bb.18:
	ds_read_b128 v[148:151], v208 offset:2080
	ds_read_b128 v[152:155], v208 offset:4368
	;; [unrolled: 1-line block ×5, first 2 shown]
.LBB0_19:
	s_or_b64 exec, exec, s[0:1]
	v_accvgpr_read_b32 v2, a26
	s_waitcnt lgkmcnt(7)
	v_mul_f64 v[0:1], v[30:31], v[132:133]
	v_accvgpr_read_b32 v4, a28
	v_accvgpr_read_b32 v5, a29
	v_fma_f64 v[16:17], v[28:29], v[134:135], -v[0:1]
	v_accvgpr_read_b32 v3, a27
	s_waitcnt lgkmcnt(5)
	v_mul_f64 v[14:15], v[4:5], v[130:131]
	v_mul_f64 v[0:1], v[4:5], v[128:129]
	v_fmac_f64_e32 v[14:15], v[2:3], v[128:129]
	v_fma_f64 v[18:19], v[2:3], v[130:131], -v[0:1]
	v_accvgpr_read_b32 v2, a30
	v_accvgpr_read_b32 v4, a32
	;; [unrolled: 1-line block ×4, first 2 shown]
	s_waitcnt lgkmcnt(3)
	v_mul_f64 v[20:21], v[4:5], v[126:127]
	v_mul_f64 v[0:1], v[4:5], v[124:125]
	v_fmac_f64_e32 v[20:21], v[2:3], v[124:125]
	v_fma_f64 v[22:23], v[2:3], v[126:127], -v[0:1]
	v_accvgpr_read_b32 v2, a22
	v_accvgpr_read_b32 v4, a24
	;; [unrolled: 1-line block ×4, first 2 shown]
	s_waitcnt lgkmcnt(1)
	v_mul_f64 v[24:25], v[4:5], v[122:123]
	v_mul_f64 v[0:1], v[4:5], v[120:121]
	;; [unrolled: 1-line block ×3, first 2 shown]
	v_fmac_f64_e32 v[24:25], v[2:3], v[120:121]
	v_fma_f64 v[26:27], v[2:3], v[122:123], -v[0:1]
	v_mul_f64 v[30:31], v[46:47], v[118:119]
	v_mul_f64 v[0:1], v[46:47], v[116:117]
	v_add_f64 v[2:3], v[14:15], v[20:21]
	s_mov_b32 s0, 0x134454ff
	v_fmac_f64_e32 v[10:11], v[28:29], v[132:133]
	v_fmac_f64_e32 v[30:31], v[44:45], v[116:117]
	v_fma_f64 v[44:45], v[44:45], v[118:119], -v[0:1]
	v_mul_f64 v[46:47], v[42:43], v[114:115]
	v_mul_f64 v[0:1], v[42:43], v[112:113]
	v_fma_f64 v[4:5], -0.5, v[2:3], v[100:101]
	v_add_f64 v[2:3], v[16:17], -v[26:27]
	s_mov_b32 s1, 0xbfee6f0e
	s_mov_b32 s6, 0x4755a5e
	s_mov_b32 s19, 0x3fee6f0e
	s_mov_b32 s18, s0
	v_fmac_f64_e32 v[46:47], v[40:41], v[112:113]
	v_fma_f64 v[40:41], v[40:41], v[114:115], -v[0:1]
	v_mul_f64 v[42:43], v[38:39], v[110:111]
	v_mul_f64 v[0:1], v[38:39], v[108:109]
	v_fma_f64 v[8:9], s[0:1], v[2:3], v[4:5]
	v_add_f64 v[6:7], v[18:19], -v[22:23]
	s_mov_b32 s7, 0xbfe2cf23
	v_add_f64 v[12:13], v[10:11], -v[14:15]
	v_add_f64 v[28:29], v[24:25], -v[20:21]
	s_mov_b32 s16, 0x372fe950
	v_fmac_f64_e32 v[4:5], s[18:19], v[2:3]
	s_mov_b32 s21, 0x3fe2cf23
	s_mov_b32 s20, s6
	v_fmac_f64_e32 v[42:43], v[36:37], v[108:109]
	v_fma_f64 v[36:37], v[36:37], v[110:111], -v[0:1]
	s_waitcnt lgkmcnt(0)
	v_mul_f64 v[38:39], v[34:35], v[106:107]
	v_mul_f64 v[0:1], v[34:35], v[104:105]
	v_fmac_f64_e32 v[8:9], s[6:7], v[6:7]
	v_add_f64 v[12:13], v[12:13], v[28:29]
	s_mov_b32 s17, 0x3fd3c6ef
	v_fmac_f64_e32 v[4:5], s[20:21], v[6:7]
	v_fmac_f64_e32 v[38:39], v[32:33], v[104:105]
	v_fma_f64 v[32:33], v[32:33], v[106:107], -v[0:1]
	v_add_f64 v[0:1], v[100:101], v[10:11]
	v_fmac_f64_e32 v[8:9], s[16:17], v[12:13]
	v_fmac_f64_e32 v[4:5], s[16:17], v[12:13]
	v_add_f64 v[12:13], v[10:11], v[24:25]
	v_add_f64 v[0:1], v[0:1], v[14:15]
	v_fmac_f64_e32 v[100:101], -0.5, v[12:13]
	v_add_f64 v[0:1], v[0:1], v[20:21]
	v_fma_f64 v[12:13], s[18:19], v[6:7], v[100:101]
	v_add_f64 v[28:29], v[14:15], -v[10:11]
	v_add_f64 v[34:35], v[20:21], -v[24:25]
	v_fmac_f64_e32 v[100:101], s[0:1], v[6:7]
	v_add_f64 v[6:7], v[18:19], v[22:23]
	v_add_f64 v[0:1], v[0:1], v[24:25]
	v_fmac_f64_e32 v[12:13], s[6:7], v[2:3]
	v_add_f64 v[28:29], v[28:29], v[34:35]
	v_fmac_f64_e32 v[100:101], s[20:21], v[2:3]
	v_fma_f64 v[6:7], -0.5, v[6:7], v[102:103]
	v_add_f64 v[24:25], v[10:11], -v[24:25]
	v_fmac_f64_e32 v[12:13], s[16:17], v[28:29]
	v_fmac_f64_e32 v[100:101], s[16:17], v[28:29]
	v_fma_f64 v[10:11], s[18:19], v[24:25], v[6:7]
	v_add_f64 v[20:21], v[14:15], -v[20:21]
	v_add_f64 v[14:15], v[16:17], -v[18:19]
	;; [unrolled: 1-line block ×3, first 2 shown]
	v_fmac_f64_e32 v[6:7], s[0:1], v[24:25]
	v_add_f64 v[2:3], v[102:103], v[16:17]
	v_fmac_f64_e32 v[10:11], s[20:21], v[20:21]
	v_add_f64 v[14:15], v[14:15], v[28:29]
	;; [unrolled: 2-line block ×3, first 2 shown]
	v_fmac_f64_e32 v[10:11], s[16:17], v[14:15]
	v_fmac_f64_e32 v[6:7], s[16:17], v[14:15]
	v_add_f64 v[14:15], v[16:17], v[26:27]
	v_add_f64 v[16:17], v[18:19], -v[16:17]
	v_add_f64 v[18:19], v[22:23], -v[26:27]
	v_fmac_f64_e32 v[102:103], -0.5, v[14:15]
	v_add_f64 v[16:17], v[16:17], v[18:19]
	v_add_f64 v[18:19], v[46:47], v[42:43]
	;; [unrolled: 1-line block ×3, first 2 shown]
	v_fma_f64 v[14:15], s[0:1], v[20:21], v[102:103]
	v_fmac_f64_e32 v[102:103], s[18:19], v[20:21]
	v_fma_f64 v[20:21], -0.5, v[18:19], v[96:97]
	v_add_f64 v[18:19], v[44:45], -v[32:33]
	v_add_f64 v[2:3], v[2:3], v[26:27]
	v_fmac_f64_e32 v[14:15], s[20:21], v[24:25]
	v_fmac_f64_e32 v[102:103], s[6:7], v[24:25]
	v_fma_f64 v[24:25], s[0:1], v[18:19], v[20:21]
	v_add_f64 v[22:23], v[40:41], -v[36:37]
	v_add_f64 v[26:27], v[30:31], -v[46:47]
	;; [unrolled: 1-line block ×3, first 2 shown]
	v_fmac_f64_e32 v[20:21], s[18:19], v[18:19]
	v_fmac_f64_e32 v[24:25], s[6:7], v[22:23]
	v_add_f64 v[26:27], v[26:27], v[28:29]
	v_fmac_f64_e32 v[20:21], s[20:21], v[22:23]
	v_fmac_f64_e32 v[24:25], s[16:17], v[26:27]
	;; [unrolled: 1-line block ×3, first 2 shown]
	v_add_f64 v[26:27], v[30:31], v[38:39]
	v_fmac_f64_e32 v[14:15], s[16:17], v[16:17]
	v_fmac_f64_e32 v[102:103], s[16:17], v[16:17]
	v_add_f64 v[16:17], v[96:97], v[30:31]
	v_fmac_f64_e32 v[96:97], -0.5, v[26:27]
	v_add_f64 v[16:17], v[16:17], v[46:47]
	v_fma_f64 v[28:29], s[18:19], v[22:23], v[96:97]
	v_add_f64 v[26:27], v[46:47], -v[30:31]
	v_add_f64 v[34:35], v[42:43], -v[38:39]
	v_fmac_f64_e32 v[96:97], s[0:1], v[22:23]
	v_add_f64 v[22:23], v[40:41], v[36:37]
	v_add_f64 v[16:17], v[16:17], v[42:43]
	v_fmac_f64_e32 v[28:29], s[6:7], v[18:19]
	v_add_f64 v[26:27], v[26:27], v[34:35]
	v_fmac_f64_e32 v[96:97], s[20:21], v[18:19]
	v_fma_f64 v[22:23], -0.5, v[22:23], v[98:99]
	v_add_f64 v[34:35], v[30:31], -v[38:39]
	v_add_f64 v[16:17], v[16:17], v[38:39]
	v_fmac_f64_e32 v[28:29], s[16:17], v[26:27]
	v_fmac_f64_e32 v[96:97], s[16:17], v[26:27]
	v_fma_f64 v[26:27], s[18:19], v[34:35], v[22:23]
	v_add_f64 v[38:39], v[46:47], -v[42:43]
	v_add_f64 v[30:31], v[44:45], -v[40:41]
	v_add_f64 v[42:43], v[32:33], -v[36:37]
	v_fmac_f64_e32 v[22:23], s[0:1], v[34:35]
	v_add_f64 v[18:19], v[98:99], v[44:45]
	v_fmac_f64_e32 v[26:27], s[20:21], v[38:39]
	v_add_f64 v[30:31], v[30:31], v[42:43]
	;; [unrolled: 2-line block ×3, first 2 shown]
	v_fmac_f64_e32 v[26:27], s[16:17], v[30:31]
	v_fmac_f64_e32 v[22:23], s[16:17], v[30:31]
	v_add_f64 v[30:31], v[44:45], v[32:33]
	v_add_f64 v[18:19], v[18:19], v[36:37]
	v_fmac_f64_e32 v[98:99], -0.5, v[30:31]
	v_add_f64 v[18:19], v[18:19], v[32:33]
	v_fma_f64 v[30:31], s[0:1], v[38:39], v[98:99]
	v_add_f64 v[40:41], v[40:41], -v[44:45]
	v_add_f64 v[32:33], v[36:37], -v[32:33]
	v_fmac_f64_e32 v[98:99], s[18:19], v[38:39]
	v_fmac_f64_e32 v[30:31], s[20:21], v[34:35]
	v_add_f64 v[32:33], v[40:41], v[32:33]
	v_fmac_f64_e32 v[98:99], s[6:7], v[34:35]
	v_fmac_f64_e32 v[30:31], s[16:17], v[32:33]
	;; [unrolled: 1-line block ×3, first 2 shown]
	v_accvgpr_read_b32 v32, a34
	s_barrier
	ds_write_b128 v32, v[0:3]
	ds_write_b128 v32, v[8:11] offset:208
	ds_write_b128 v32, v[12:15] offset:416
	;; [unrolled: 1-line block ×4, first 2 shown]
	v_accvgpr_read_b32 v0, a35
	ds_write_b128 v0, v[16:19]
	ds_write_b128 v0, v[24:27] offset:208
	ds_write_b128 v0, v[28:31] offset:416
	ds_write_b128 v0, v[96:99] offset:624
	ds_write_b128 v0, v[20:23] offset:832
	s_and_saveexec_b64 s[22:23], s[2:3]
	s_cbranch_execz .LBB0_21
; %bb.20:
	v_accvgpr_read_b32 v14, a18
	v_accvgpr_read_b32 v21, a17
	;; [unrolled: 1-line block ×8, first 2 shown]
	v_mul_f64 v[0:1], v[16:17], v[156:157]
	v_accvgpr_read_b32 v32, a12
	v_accvgpr_read_b32 v19, a15
	;; [unrolled: 1-line block ×3, first 2 shown]
	v_mul_f64 v[6:7], v[20:21], v[52:53]
	v_accvgpr_read_b32 v28, a8
	v_fma_f64 v[4:5], v[14:15], v[158:159], -v[0:1]
	v_accvgpr_read_b32 v31, a11
	v_accvgpr_read_b32 v30, a10
	v_mul_f64 v[0:1], v[32:33], v[152:153]
	v_fma_f64 v[8:9], v[18:19], v[54:55], -v[6:7]
	v_accvgpr_read_b32 v27, a7
	v_accvgpr_read_b32 v26, a6
	v_mul_f64 v[6:7], v[28:29], v[48:49]
	v_fma_f64 v[0:1], v[30:31], v[154:155], -v[0:1]
	v_fma_f64 v[12:13], v[26:27], v[50:51], -v[6:7]
	v_add_f64 v[2:3], v[4:5], -v[0:1]
	v_add_f64 v[6:7], v[8:9], -v[12:13]
	v_mul_f64 v[16:17], v[16:17], v[158:159]
	v_mul_f64 v[20:21], v[20:21], v[54:55]
	v_add_f64 v[10:11], v[2:3], v[6:7]
	v_fmac_f64_e32 v[16:17], v[14:15], v[156:157]
	v_fmac_f64_e32 v[20:21], v[18:19], v[52:53]
	v_add_f64 v[2:3], v[0:1], v[12:13]
	v_mul_f64 v[22:23], v[32:33], v[154:155]
	v_mul_f64 v[24:25], v[28:29], v[50:51]
	v_add_f64 v[18:19], v[16:17], -v[20:21]
	v_fma_f64 v[2:3], -0.5, v[2:3], v[150:151]
	v_fmac_f64_e32 v[22:23], v[30:31], v[152:153]
	v_fmac_f64_e32 v[24:25], v[26:27], v[48:49]
	v_fma_f64 v[6:7], s[18:19], v[18:19], v[2:3]
	v_add_f64 v[26:27], v[22:23], -v[24:25]
	v_fmac_f64_e32 v[2:3], s[0:1], v[18:19]
	v_fmac_f64_e32 v[6:7], s[6:7], v[26:27]
	;; [unrolled: 1-line block ×5, first 2 shown]
	v_add_f64 v[10:11], v[0:1], -v[4:5]
	v_add_f64 v[14:15], v[12:13], -v[8:9]
	v_add_f64 v[28:29], v[10:11], v[14:15]
	v_add_f64 v[10:11], v[4:5], v[8:9]
	v_fma_f64 v[10:11], -0.5, v[10:11], v[150:151]
	v_fma_f64 v[14:15], s[0:1], v[26:27], v[10:11]
	v_fmac_f64_e32 v[10:11], s[18:19], v[26:27]
	v_fmac_f64_e32 v[14:15], s[6:7], v[18:19]
	;; [unrolled: 1-line block ×5, first 2 shown]
	v_add_f64 v[26:27], v[16:17], -v[22:23]
	v_add_f64 v[28:29], v[20:21], -v[24:25]
	v_add_f64 v[18:19], v[150:151], v[0:1]
	v_add_f64 v[26:27], v[26:27], v[28:29]
	v_add_f64 v[28:29], v[0:1], -v[12:13]
	v_add_f64 v[0:1], v[22:23], v[24:25]
	v_add_f64 v[18:19], v[18:19], v[4:5]
	v_fma_f64 v[0:1], -0.5, v[0:1], v[148:149]
	v_add_f64 v[30:31], v[4:5], -v[8:9]
	v_add_f64 v[18:19], v[18:19], v[8:9]
	v_fma_f64 v[4:5], s[0:1], v[30:31], v[0:1]
	v_fmac_f64_e32 v[0:1], s[18:19], v[30:31]
	v_add_f64 v[18:19], v[18:19], v[12:13]
	v_fmac_f64_e32 v[4:5], s[20:21], v[28:29]
	v_fmac_f64_e32 v[0:1], s[6:7], v[28:29]
	v_add_f64 v[8:9], v[22:23], -v[16:17]
	v_add_f64 v[12:13], v[24:25], -v[20:21]
	v_add_f64 v[22:23], v[148:149], v[22:23]
	v_fmac_f64_e32 v[4:5], s[16:17], v[26:27]
	v_fmac_f64_e32 v[0:1], s[16:17], v[26:27]
	v_add_f64 v[26:27], v[8:9], v[12:13]
	v_add_f64 v[8:9], v[16:17], v[20:21]
	;; [unrolled: 1-line block ×3, first 2 shown]
	v_fma_f64 v[8:9], -0.5, v[8:9], v[148:149]
	v_add_f64 v[16:17], v[16:17], v[20:21]
	v_accvgpr_read_b32 v20, a5
	v_fma_f64 v[12:13], s[18:19], v[28:29], v[8:9]
	v_fmac_f64_e32 v[8:9], s[0:1], v[28:29]
	v_and_b32_e32 v20, 0xff, v20
	v_fmac_f64_e32 v[12:13], s[20:21], v[30:31]
	v_fmac_f64_e32 v[8:9], s[6:7], v[30:31]
	v_add_f64 v[16:17], v[16:17], v[24:25]
	v_lshl_add_u32 v20, v20, 4, v219
	v_fmac_f64_e32 v[12:13], s[16:17], v[26:27]
	v_fmac_f64_e32 v[8:9], s[16:17], v[26:27]
	ds_write_b128 v20, v[16:19] offset:10400
	ds_write_b128 v20, v[8:11] offset:10608
	ds_write_b128 v20, v[0:3] offset:10816
	ds_write_b128 v20, v[4:7] offset:11024
	ds_write_b128 v20, v[12:15] offset:11232
.LBB0_21:
	s_or_b64 exec, exec, s[22:23]
	s_waitcnt lgkmcnt(0)
	s_barrier
	ds_read_b128 v[4:7], v208
	ds_read_b128 v[0:3], v208 offset:1040
	ds_read_b128 v[8:11], v208 offset:2080
	;; [unrolled: 1-line block ×10, first 2 shown]
	s_waitcnt lgkmcnt(9)
	v_mul_f64 v[46:47], v[70:71], v[2:3]
	v_fmac_f64_e32 v[46:47], v[68:69], v[0:1]
	v_mul_f64 v[0:1], v[70:71], v[0:1]
	v_fma_f64 v[48:49], v[68:69], v[2:3], -v[0:1]
	s_waitcnt lgkmcnt(8)
	v_mul_f64 v[0:1], v[66:67], v[8:9]
	v_fma_f64 v[52:53], v[64:65], v[10:11], -v[0:1]
	s_waitcnt lgkmcnt(7)
	v_mul_f64 v[54:55], v[62:63], v[14:15]
	v_mul_f64 v[0:1], v[62:63], v[12:13]
	v_fmac_f64_e32 v[54:55], v[60:61], v[12:13]
	v_fma_f64 v[60:61], v[60:61], v[14:15], -v[0:1]
	s_waitcnt lgkmcnt(6)
	v_mul_f64 v[16:17], v[58:59], v[20:21]
	v_mul_f64 v[0:1], v[58:59], v[18:19]
	v_fmac_f64_e32 v[16:17], v[56:57], v[18:19]
	v_fma_f64 v[18:19], v[56:57], v[20:21], -v[0:1]
	s_waitcnt lgkmcnt(5)
	v_mul_f64 v[0:1], v[86:87], v[22:23]
	v_mul_f64 v[50:51], v[66:67], v[10:11]
	v_fma_f64 v[10:11], v[84:85], v[24:25], -v[0:1]
	s_waitcnt lgkmcnt(4)
	v_mul_f64 v[0:1], v[82:83], v[26:27]
	v_fmac_f64_e32 v[50:51], v[64:65], v[8:9]
	v_mul_f64 v[8:9], v[86:87], v[24:25]
	v_fma_f64 v[14:15], v[80:81], v[28:29], -v[0:1]
	s_waitcnt lgkmcnt(3)
	v_mul_f64 v[0:1], v[78:79], v[30:31]
	v_fmac_f64_e32 v[8:9], v[84:85], v[22:23]
	v_mul_f64 v[12:13], v[82:83], v[28:29]
	v_fma_f64 v[22:23], v[76:77], v[32:33], -v[0:1]
	s_waitcnt lgkmcnt(2)
	v_mul_f64 v[0:1], v[74:75], v[34:35]
	v_add_f64 v[2:3], v[6:7], v[48:49]
	v_fmac_f64_e32 v[12:13], v[80:81], v[26:27]
	v_mul_f64 v[20:21], v[78:79], v[32:33]
	v_fma_f64 v[26:27], v[72:73], v[36:37], -v[0:1]
	s_waitcnt lgkmcnt(1)
	v_mul_f64 v[0:1], v[94:95], v[38:39]
	v_add_f64 v[2:3], v[2:3], v[52:53]
	;; [unrolled: 6-line block ×3, first 2 shown]
	v_fmac_f64_e32 v[24:25], v[72:73], v[34:35]
	v_fma_f64 v[34:35], v[88:89], v[44:45], -v[0:1]
	v_add_f64 v[0:1], v[4:5], v[46:47]
	v_add_f64 v[2:3], v[2:3], v[18:19]
	;; [unrolled: 1-line block ×10, first 2 shown]
	v_mul_f64 v[28:29], v[94:95], v[40:41]
	v_mul_f64 v[32:33], v[90:91], v[44:45]
	v_add_f64 v[0:1], v[0:1], v[12:13]
	v_add_f64 v[2:3], v[2:3], v[30:31]
	s_mov_b32 s20, 0xf8bb580b
	s_mov_b32 s2, 0x8eee2c13
	;; [unrolled: 1-line block ×5, first 2 shown]
	v_fmac_f64_e32 v[28:29], v[92:93], v[38:39]
	v_fmac_f64_e32 v[32:33], v[88:89], v[42:43]
	v_add_f64 v[0:1], v[0:1], v[20:21]
	v_add_f64 v[2:3], v[2:3], v[34:35]
	;; [unrolled: 1-line block ×3, first 2 shown]
	v_add_f64 v[34:35], v[48:49], -v[34:35]
	s_mov_b32 s21, 0xbfe14ced
	s_mov_b32 s22, 0x8764f0ba
	s_mov_b32 s3, 0xbfed1bb4
	s_mov_b32 s6, 0xd9c712b6
	s_mov_b32 s1, 0xbfefac9e
	s_mov_b32 s18, 0x640f44db
	s_mov_b32 s29, 0xbfe82f19
	s_mov_b32 s30, 0x7f775887
	s_mov_b32 s37, 0xbfd207e7
	s_mov_b32 s38, 0x9bcd5057
	v_add_f64 v[0:1], v[0:1], v[24:25]
	v_add_f64 v[36:37], v[46:47], v[32:33]
	v_mul_f64 v[40:41], v[34:35], s[20:21]
	s_mov_b32 s23, 0x3feaeb8c
	v_mul_f64 v[48:49], v[34:35], s[2:3]
	s_mov_b32 s7, 0x3fda9628
	;; [unrolled: 2-line block ×5, first 2 shown]
	v_add_f64 v[0:1], v[0:1], v[28:29]
	v_fma_f64 v[42:43], s[22:23], v[36:37], v[40:41]
	v_fma_f64 v[40:41], v[36:37], s[22:23], -v[40:41]
	v_fma_f64 v[56:57], s[6:7], v[36:37], v[48:49]
	v_fma_f64 v[48:49], v[36:37], s[6:7], -v[48:49]
	;; [unrolled: 2-line block ×5, first 2 shown]
	v_add_f64 v[0:1], v[0:1], v[32:33]
	v_add_f64 v[32:33], v[46:47], -v[32:33]
	v_add_f64 v[42:43], v[4:5], v[42:43]
	v_mul_f64 v[44:45], v[38:39], s[22:23]
	s_mov_b32 s25, 0x3fe14ced
	s_mov_b32 s24, s20
	v_add_f64 v[40:41], v[4:5], v[40:41]
	v_add_f64 v[56:57], v[4:5], v[56:57]
	v_mul_f64 v[58:59], v[38:39], s[6:7]
	s_mov_b32 s17, 0x3fed1bb4
	s_mov_b32 s16, s2
	v_add_f64 v[48:49], v[4:5], v[48:49]
	;; [unrolled: 5-line block ×5, first 2 shown]
	v_add_f64 v[34:35], v[52:53], v[30:31]
	v_add_f64 v[30:31], v[52:53], -v[30:31]
	v_fma_f64 v[46:47], s[24:25], v[32:33], v[44:45]
	v_fmac_f64_e32 v[44:45], s[20:21], v[32:33]
	v_fma_f64 v[62:63], s[16:17], v[32:33], v[58:59]
	v_fmac_f64_e32 v[58:59], s[2:3], v[32:33]
	;; [unrolled: 2-line block ×5, first 2 shown]
	v_add_f64 v[32:33], v[50:51], v[28:29]
	v_mul_f64 v[36:37], v[30:31], s[2:3]
	v_add_f64 v[46:47], v[6:7], v[46:47]
	v_add_f64 v[44:45], v[6:7], v[44:45]
	;; [unrolled: 1-line block ×10, first 2 shown]
	v_fma_f64 v[38:39], s[6:7], v[32:33], v[36:37]
	v_add_f64 v[28:29], v[50:51], -v[28:29]
	v_add_f64 v[38:39], v[38:39], v[42:43]
	v_mul_f64 v[42:43], v[34:35], s[6:7]
	v_fma_f64 v[50:51], s[16:17], v[28:29], v[42:43]
	v_fma_f64 v[36:37], v[32:33], s[6:7], -v[36:37]
	v_fmac_f64_e32 v[42:43], s[2:3], v[28:29]
	v_add_f64 v[46:47], v[50:51], v[46:47]
	v_add_f64 v[36:37], v[36:37], v[40:41]
	v_add_f64 v[40:41], v[42:43], v[44:45]
	v_mul_f64 v[42:43], v[30:31], s[28:29]
	v_mul_f64 v[50:51], v[34:35], s[30:31]
	v_fma_f64 v[44:45], s[30:31], v[32:33], v[42:43]
	v_fma_f64 v[52:53], s[34:35], v[28:29], v[50:51]
	v_fma_f64 v[42:43], v[32:33], s[30:31], -v[42:43]
	v_fmac_f64_e32 v[50:51], s[28:29], v[28:29]
	v_add_f64 v[42:43], v[42:43], v[48:49]
	v_add_f64 v[48:49], v[50:51], v[58:59]
	v_mul_f64 v[50:51], v[30:31], s[40:41]
	v_add_f64 v[44:45], v[44:45], v[56:57]
	v_fma_f64 v[56:57], s[38:39], v[32:33], v[50:51]
	v_fma_f64 v[50:51], v[32:33], s[38:39], -v[50:51]
	v_add_f64 v[50:51], v[50:51], v[64:65]
	v_mul_f64 v[64:65], v[30:31], s[26:27]
	v_add_f64 v[56:57], v[56:57], v[66:67]
	v_mul_f64 v[58:59], v[34:35], s[38:39]
	v_fma_f64 v[66:67], s[18:19], v[32:33], v[64:65]
	v_fma_f64 v[64:65], v[32:33], s[18:19], -v[64:65]
	v_mul_f64 v[30:31], v[30:31], s[24:25]
	v_add_f64 v[52:53], v[52:53], v[62:63]
	v_fma_f64 v[62:63], s[36:37], v[28:29], v[58:59]
	v_fmac_f64_e32 v[58:59], s[40:41], v[28:29]
	v_add_f64 v[64:65], v[64:65], v[72:73]
	v_fma_f64 v[72:73], s[22:23], v[32:33], v[30:31]
	v_fma_f64 v[30:31], v[32:33], s[22:23], -v[30:31]
	v_add_f64 v[58:59], v[58:59], v[68:69]
	v_mul_f64 v[68:69], v[34:35], s[18:19]
	v_mul_f64 v[34:35], v[34:35], s[22:23]
	v_add_f64 v[4:5], v[30:31], v[4:5]
	v_add_f64 v[30:31], v[60:61], v[26:27]
	v_add_f64 v[26:27], v[60:61], -v[26:27]
	v_add_f64 v[62:63], v[62:63], v[70:71]
	v_add_f64 v[66:67], v[66:67], v[74:75]
	v_fma_f64 v[70:71], s[0:1], v[28:29], v[68:69]
	v_fmac_f64_e32 v[68:69], s[26:27], v[28:29]
	v_fma_f64 v[74:75], s[20:21], v[28:29], v[34:35]
	v_fmac_f64_e32 v[34:35], s[24:25], v[28:29]
	v_add_f64 v[28:29], v[54:55], v[24:25]
	v_mul_f64 v[32:33], v[26:27], s[0:1]
	v_add_f64 v[6:7], v[34:35], v[6:7]
	v_fma_f64 v[34:35], s[18:19], v[28:29], v[32:33]
	v_add_f64 v[24:25], v[54:55], -v[24:25]
	v_add_f64 v[34:35], v[34:35], v[38:39]
	v_mul_f64 v[38:39], v[30:31], s[18:19]
	v_fma_f64 v[54:55], s[26:27], v[24:25], v[38:39]
	v_fma_f64 v[32:33], v[28:29], s[18:19], -v[32:33]
	v_fmac_f64_e32 v[38:39], s[0:1], v[24:25]
	v_add_f64 v[32:33], v[32:33], v[36:37]
	v_add_f64 v[36:37], v[38:39], v[40:41]
	v_mul_f64 v[38:39], v[26:27], s[40:41]
	v_fma_f64 v[40:41], s[38:39], v[28:29], v[38:39]
	v_add_f64 v[40:41], v[40:41], v[44:45]
	v_mul_f64 v[44:45], v[30:31], s[38:39]
	v_add_f64 v[46:47], v[54:55], v[46:47]
	v_fma_f64 v[54:55], s[36:37], v[24:25], v[44:45]
	v_fma_f64 v[38:39], v[28:29], s[38:39], -v[38:39]
	v_fmac_f64_e32 v[44:45], s[40:41], v[24:25]
	v_add_f64 v[38:39], v[38:39], v[42:43]
	v_add_f64 v[42:43], v[44:45], v[48:49]
	v_mul_f64 v[44:45], v[26:27], s[16:17]
	v_add_f64 v[52:53], v[54:55], v[52:53]
	v_fma_f64 v[48:49], s[6:7], v[28:29], v[44:45]
	v_mul_f64 v[54:55], v[30:31], s[6:7]
	v_add_f64 v[48:49], v[48:49], v[56:57]
	v_fma_f64 v[56:57], s[2:3], v[24:25], v[54:55]
	v_fma_f64 v[44:45], v[28:29], s[6:7], -v[44:45]
	v_fmac_f64_e32 v[54:55], s[16:17], v[24:25]
	v_add_f64 v[44:45], v[44:45], v[50:51]
	v_add_f64 v[50:51], v[54:55], v[58:59]
	v_mul_f64 v[54:55], v[26:27], s[20:21]
	v_fma_f64 v[58:59], s[22:23], v[28:29], v[54:55]
	v_fma_f64 v[54:55], v[28:29], s[22:23], -v[54:55]
	v_mul_f64 v[26:27], v[26:27], s[28:29]
	v_add_f64 v[54:55], v[54:55], v[64:65]
	v_fma_f64 v[64:65], s[30:31], v[28:29], v[26:27]
	v_fma_f64 v[26:27], v[28:29], s[30:31], -v[26:27]
	v_mul_f64 v[60:61], v[30:31], s[22:23]
	v_mul_f64 v[30:31], v[30:31], s[30:31]
	v_add_f64 v[4:5], v[26:27], v[4:5]
	v_add_f64 v[26:27], v[18:19], v[22:23]
	v_add_f64 v[18:19], v[18:19], -v[22:23]
	v_add_f64 v[56:57], v[56:57], v[62:63]
	v_add_f64 v[58:59], v[58:59], v[66:67]
	v_fma_f64 v[62:63], s[24:25], v[24:25], v[60:61]
	v_fmac_f64_e32 v[60:61], s[20:21], v[24:25]
	v_fma_f64 v[66:67], s[34:35], v[24:25], v[30:31]
	v_fmac_f64_e32 v[30:31], s[28:29], v[24:25]
	v_add_f64 v[24:25], v[16:17], v[20:21]
	v_add_f64 v[16:17], v[16:17], -v[20:21]
	v_mul_f64 v[20:21], v[18:19], s[28:29]
	v_fma_f64 v[22:23], s[30:31], v[24:25], v[20:21]
	v_mul_f64 v[28:29], v[26:27], s[30:31]
	v_fma_f64 v[20:21], v[24:25], s[30:31], -v[20:21]
	v_add_f64 v[6:7], v[30:31], v[6:7]
	v_fma_f64 v[30:31], s[34:35], v[16:17], v[28:29]
	v_add_f64 v[20:21], v[20:21], v[32:33]
	v_fmac_f64_e32 v[28:29], s[28:29], v[16:17]
	v_mul_f64 v[32:33], v[18:19], s[26:27]
	v_add_f64 v[22:23], v[22:23], v[34:35]
	v_add_f64 v[28:29], v[28:29], v[36:37]
	v_fma_f64 v[34:35], s[18:19], v[24:25], v[32:33]
	v_mul_f64 v[36:37], v[26:27], s[18:19]
	v_fma_f64 v[32:33], v[24:25], s[18:19], -v[32:33]
	v_add_f64 v[34:35], v[34:35], v[40:41]
	v_fma_f64 v[40:41], s[0:1], v[16:17], v[36:37]
	v_add_f64 v[32:33], v[32:33], v[38:39]
	v_fmac_f64_e32 v[36:37], s[26:27], v[16:17]
	v_mul_f64 v[38:39], v[18:19], s[20:21]
	v_add_f64 v[30:31], v[30:31], v[46:47]
	v_add_f64 v[36:37], v[36:37], v[42:43]
	v_fma_f64 v[42:43], s[22:23], v[24:25], v[38:39]
	v_mul_f64 v[46:47], v[26:27], s[22:23]
	v_add_f64 v[42:43], v[42:43], v[48:49]
	v_fma_f64 v[48:49], s[24:25], v[16:17], v[46:47]
	v_fma_f64 v[38:39], v[24:25], s[22:23], -v[38:39]
	v_fmac_f64_e32 v[46:47], s[20:21], v[16:17]
	v_add_f64 v[38:39], v[38:39], v[44:45]
	v_add_f64 v[44:45], v[46:47], v[50:51]
	v_mul_f64 v[46:47], v[18:19], s[36:37]
	v_add_f64 v[70:71], v[70:71], v[78:79]
	v_add_f64 v[72:73], v[72:73], v[80:81]
	;; [unrolled: 1-line block ×4, first 2 shown]
	v_fma_f64 v[50:51], s[38:39], v[24:25], v[46:47]
	v_mul_f64 v[52:53], v[26:27], s[38:39]
	v_fma_f64 v[46:47], v[24:25], s[38:39], -v[46:47]
	v_mul_f64 v[18:19], v[18:19], s[16:17]
	v_mul_f64 v[26:27], v[26:27], s[6:7]
	v_add_f64 v[68:69], v[68:69], v[76:77]
	v_add_f64 v[62:63], v[62:63], v[70:71]
	v_add_f64 v[64:65], v[64:65], v[72:73]
	v_add_f64 v[66:67], v[66:67], v[74:75]
	v_add_f64 v[50:51], v[50:51], v[58:59]
	v_add_f64 v[46:47], v[46:47], v[54:55]
	v_fma_f64 v[54:55], s[6:7], v[24:25], v[18:19]
	v_fma_f64 v[58:59], s[2:3], v[16:17], v[26:27]
	v_add_f64 v[70:71], v[10:11], -v[14:15]
	v_add_f64 v[60:61], v[60:61], v[68:69]
	v_add_f64 v[48:49], v[48:49], v[56:57]
	v_fma_f64 v[56:57], s[40:41], v[16:17], v[52:53]
	v_fmac_f64_e32 v[52:53], s[36:37], v[16:17]
	v_add_f64 v[54:55], v[54:55], v[64:65]
	v_add_f64 v[58:59], v[58:59], v[66:67]
	v_fma_f64 v[18:19], v[24:25], s[6:7], -v[18:19]
	v_add_f64 v[64:65], v[8:9], v[12:13]
	v_add_f64 v[66:67], v[10:11], v[14:15]
	v_add_f64 v[68:69], v[8:9], -v[12:13]
	v_mul_f64 v[8:9], v[70:71], s[36:37]
	v_add_f64 v[52:53], v[52:53], v[60:61]
	v_add_f64 v[60:61], v[18:19], v[4:5]
	v_fmac_f64_e32 v[26:27], s[16:17], v[16:17]
	v_fma_f64 v[4:5], s[38:39], v[64:65], v[8:9]
	v_fma_f64 v[8:9], v[64:65], s[38:39], -v[8:9]
	v_mul_f64 v[16:17], v[70:71], s[24:25]
	v_mul_f64 v[18:19], v[66:67], s[22:23]
	;; [unrolled: 1-line block ×4, first 2 shown]
	v_add_f64 v[8:9], v[8:9], v[20:21]
	v_fma_f64 v[12:13], s[22:23], v[64:65], v[16:17]
	v_fma_f64 v[14:15], s[20:21], v[68:69], v[18:19]
	v_fma_f64 v[16:17], v[64:65], s[22:23], -v[16:17]
	v_fma_f64 v[20:21], s[30:31], v[64:65], v[24:25]
	v_add_f64 v[56:57], v[56:57], v[62:63]
	v_add_f64 v[62:63], v[26:27], v[6:7]
	v_fma_f64 v[6:7], s[40:41], v[68:69], v[10:11]
	v_fmac_f64_e32 v[10:11], s[36:37], v[68:69]
	v_add_f64 v[12:13], v[12:13], v[34:35]
	v_add_f64 v[14:15], v[14:15], v[40:41]
	;; [unrolled: 1-line block ×3, first 2 shown]
	v_fmac_f64_e32 v[18:19], s[24:25], v[68:69]
	v_add_f64 v[20:21], v[20:21], v[42:43]
	v_mul_f64 v[26:27], v[66:67], s[30:31]
	v_fma_f64 v[24:25], v[64:65], s[30:31], -v[24:25]
	v_mul_f64 v[32:33], v[70:71], s[16:17]
	v_mul_f64 v[34:35], v[66:67], s[6:7]
	;; [unrolled: 1-line block ×4, first 2 shown]
	v_add_f64 v[4:5], v[4:5], v[22:23]
	v_add_f64 v[6:7], v[6:7], v[30:31]
	;; [unrolled: 1-line block ×4, first 2 shown]
	v_fma_f64 v[22:23], s[34:35], v[68:69], v[26:27]
	v_add_f64 v[24:25], v[24:25], v[38:39]
	v_fmac_f64_e32 v[26:27], s[28:29], v[68:69]
	v_fma_f64 v[28:29], s[6:7], v[64:65], v[32:33]
	v_fma_f64 v[30:31], s[2:3], v[68:69], v[34:35]
	v_fma_f64 v[32:33], v[64:65], s[6:7], -v[32:33]
	v_fmac_f64_e32 v[34:35], s[16:17], v[68:69]
	v_fma_f64 v[36:37], s[18:19], v[64:65], v[40:41]
	v_fma_f64 v[38:39], s[26:27], v[68:69], v[42:43]
	v_fma_f64 v[40:41], v[64:65], s[18:19], -v[40:41]
	v_fmac_f64_e32 v[42:43], s[0:1], v[68:69]
	v_add_f64 v[22:23], v[22:23], v[48:49]
	v_add_f64 v[26:27], v[26:27], v[44:45]
	;; [unrolled: 1-line block ×10, first 2 shown]
	ds_write_b128 v209, v[0:3]
	ds_write_b128 v209, v[4:7] offset:1040
	ds_write_b128 v209, v[12:15] offset:2080
	;; [unrolled: 1-line block ×10, first 2 shown]
	s_waitcnt lgkmcnt(0)
	s_barrier
	s_and_b64 exec, exec, s[4:5]
	s_cbranch_execz .LBB0_23
; %bb.22:
	global_load_dwordx4 v[0:3], v220, s[12:13]
	global_load_dwordx4 v[4:7], v220, s[12:13] offset:880
	global_load_dwordx4 v[8:11], v220, s[12:13] offset:1760
	global_load_dwordx4 v[12:15], v220, s[12:13] offset:2640
	v_mad_u64_u32 v[66:67], s[0:1], s10, v210, 0
	v_mov_b32_e32 v221, 0
	global_load_dwordx4 v[16:19], v220, s[12:13] offset:3520
	s_movk_i32 s0, 0x1000
	v_lshl_add_u64 v[46:47], s[12:13], 0, v[220:221]
	v_add_co_u32_e32 v68, vcc, s0, v46
	v_mad_u64_u32 v[70:71], s[2:3], s8, v214, 0
	s_nop 0
	v_addc_co_u32_e32 v69, vcc, 0, v47, vcc
	global_load_dwordx4 v[20:23], v[68:69], off offset:304
	ds_read_b128 v[26:29], v209
	ds_read_b128 v[30:33], v209 offset:880
	ds_read_b128 v[34:37], v209 offset:1760
	;; [unrolled: 1-line block ×3, first 2 shown]
	global_load_dwordx4 v[42:45], v[68:69], off offset:1184
	s_movk_i32 s3, 0x2000
	v_mov_b32_e32 v48, v67
	v_add_co_u32_e32 v72, vcc, s3, v46
	v_mad_u64_u32 v[52:53], s[4:5], s11, v210, v[48:49]
	s_nop 0
	v_addc_co_u32_e32 v73, vcc, 0, v47, vcc
	global_load_dwordx4 v[46:49], v[68:69], off offset:2064
	v_mov_b32_e32 v50, v71
	v_mad_u64_u32 v[50:51], s[4:5], s9, v214, v[50:51]
	v_mov_b32_e32 v67, v52
	v_mov_b32_e32 v71, v50
	global_load_dwordx4 v[50:53], v[68:69], off offset:2944
	global_load_dwordx4 v[54:57], v[68:69], off offset:3824
	global_load_dwordx4 v[58:61], v[72:73], off offset:608
	global_load_dwordx4 v[62:65], v[72:73], off offset:1488
	v_mov_b32_e32 v24, s14
	v_mov_b32_e32 v25, s15
	s_mov_b32 s0, 0xd118b474
	v_lshl_add_u64 v[24:25], v[66:67], 4, v[24:25]
	s_mov_b32 s1, 0x3f56ea28
	v_mov_b32_e32 v82, 0x370
	v_lshl_add_u64 v[24:25], v[70:71], 4, v[24:25]
	s_mul_i32 s2, s9, 0x370
	v_mad_u64_u32 v[66:67], s[4:5], s8, v82, v[24:25]
	v_add_u32_e32 v67, s2, v67
	v_mad_u64_u32 v[68:69], s[4:5], s8, v82, v[66:67]
	v_add_u32_e32 v69, s2, v69
	;; [unrolled: 2-line block ×3, first 2 shown]
	s_waitcnt vmcnt(11) lgkmcnt(3)
	v_mul_f64 v[74:75], v[28:29], v[2:3]
	v_mul_f64 v[2:3], v[26:27], v[2:3]
	s_waitcnt vmcnt(10) lgkmcnt(2)
	v_mul_f64 v[76:77], v[32:33], v[6:7]
	v_mul_f64 v[6:7], v[30:31], v[6:7]
	v_fmac_f64_e32 v[74:75], v[26:27], v[0:1]
	v_fma_f64 v[2:3], v[0:1], v[28:29], -v[2:3]
	v_fmac_f64_e32 v[76:77], v[30:31], v[4:5]
	v_fma_f64 v[6:7], v[4:5], v[32:33], -v[6:7]
	v_mul_f64 v[0:1], v[74:75], s[0:1]
	v_mul_f64 v[2:3], v[2:3], s[0:1]
	;; [unrolled: 1-line block ×4, first 2 shown]
	global_store_dwordx4 v[24:25], v[0:3], off
	global_store_dwordx4 v[66:67], v[4:7], off
	ds_read_b128 v[0:3], v209 offset:3520
	ds_read_b128 v[4:7], v209 offset:4400
	s_waitcnt vmcnt(11) lgkmcnt(3)
	v_mul_f64 v[78:79], v[36:37], v[10:11]
	v_mul_f64 v[10:11], v[34:35], v[10:11]
	v_fmac_f64_e32 v[78:79], v[34:35], v[8:9]
	v_fma_f64 v[10:11], v[8:9], v[36:37], -v[10:11]
	v_mul_f64 v[8:9], v[78:79], s[0:1]
	v_mul_f64 v[10:11], v[10:11], s[0:1]
	s_waitcnt vmcnt(10) lgkmcnt(2)
	v_mul_f64 v[80:81], v[40:41], v[14:15]
	v_mul_f64 v[14:15], v[38:39], v[14:15]
	global_store_dwordx4 v[68:69], v[8:11], off
	v_fmac_f64_e32 v[80:81], v[38:39], v[12:13]
	v_fma_f64 v[14:15], v[12:13], v[40:41], -v[14:15]
	s_waitcnt vmcnt(10) lgkmcnt(1)
	v_mul_f64 v[8:9], v[2:3], v[18:19]
	v_fmac_f64_e32 v[8:9], v[0:1], v[16:17]
	v_mul_f64 v[0:1], v[0:1], v[18:19]
	v_mul_f64 v[12:13], v[80:81], s[0:1]
	;; [unrolled: 1-line block ×3, first 2 shown]
	v_fma_f64 v[0:1], v[16:17], v[2:3], -v[0:1]
	global_store_dwordx4 v[70:71], v[12:15], off
	v_mul_f64 v[10:11], v[0:1], s[0:1]
	s_waitcnt vmcnt(10) lgkmcnt(0)
	v_mul_f64 v[0:1], v[6:7], v[22:23]
	v_mad_u64_u32 v[12:13], s[4:5], s8, v82, v[70:71]
	v_mul_f64 v[2:3], v[4:5], v[22:23]
	v_mul_f64 v[8:9], v[8:9], s[0:1]
	v_add_u32_e32 v13, s2, v13
	v_fmac_f64_e32 v[0:1], v[4:5], v[20:21]
	v_fma_f64 v[2:3], v[20:21], v[6:7], -v[2:3]
	ds_read_b128 v[4:7], v209 offset:5280
	global_store_dwordx4 v[12:13], v[8:11], off
	v_mad_u64_u32 v[12:13], s[4:5], s8, v82, v[12:13]
	v_mul_f64 v[0:1], v[0:1], s[0:1]
	v_mul_f64 v[2:3], v[2:3], s[0:1]
	v_add_u32_e32 v13, s2, v13
	global_store_dwordx4 v[12:13], v[0:3], off
	ds_read_b128 v[0:3], v209 offset:6160
	s_waitcnt vmcnt(11) lgkmcnt(1)
	v_mul_f64 v[8:9], v[6:7], v[44:45]
	v_fmac_f64_e32 v[8:9], v[4:5], v[42:43]
	v_mul_f64 v[4:5], v[4:5], v[44:45]
	v_fma_f64 v[4:5], v[42:43], v[6:7], -v[4:5]
	v_mul_f64 v[10:11], v[4:5], s[0:1]
	s_waitcnt vmcnt(10) lgkmcnt(0)
	v_mul_f64 v[4:5], v[2:3], v[48:49]
	v_fmac_f64_e32 v[4:5], v[0:1], v[46:47]
	v_mul_f64 v[0:1], v[0:1], v[48:49]
	v_mad_u64_u32 v[12:13], s[4:5], s8, v82, v[12:13]
	v_fma_f64 v[0:1], v[46:47], v[2:3], -v[0:1]
	v_mul_f64 v[8:9], v[8:9], s[0:1]
	v_add_u32_e32 v13, s2, v13
	v_mul_f64 v[6:7], v[0:1], s[0:1]
	ds_read_b128 v[0:3], v209 offset:7040
	global_store_dwordx4 v[12:13], v[8:11], off
	v_mad_u64_u32 v[12:13], s[4:5], s8, v82, v[12:13]
	v_mul_f64 v[4:5], v[4:5], s[0:1]
	v_add_u32_e32 v13, s2, v13
	global_store_dwordx4 v[12:13], v[4:7], off
	ds_read_b128 v[4:7], v209 offset:7920
	s_waitcnt vmcnt(11) lgkmcnt(1)
	v_mul_f64 v[8:9], v[2:3], v[52:53]
	v_fmac_f64_e32 v[8:9], v[0:1], v[50:51]
	v_mul_f64 v[0:1], v[0:1], v[52:53]
	v_fma_f64 v[0:1], v[50:51], v[2:3], -v[0:1]
	v_mul_f64 v[10:11], v[0:1], s[0:1]
	v_mad_u64_u32 v[12:13], s[4:5], s8, v82, v[12:13]
	s_waitcnt vmcnt(10) lgkmcnt(0)
	v_mul_f64 v[0:1], v[6:7], v[56:57]
	v_mul_f64 v[2:3], v[4:5], v[56:57]
	;; [unrolled: 1-line block ×3, first 2 shown]
	v_add_u32_e32 v13, s2, v13
	v_fmac_f64_e32 v[0:1], v[4:5], v[54:55]
	v_fma_f64 v[2:3], v[54:55], v[6:7], -v[2:3]
	ds_read_b128 v[4:7], v209 offset:8800
	global_store_dwordx4 v[12:13], v[8:11], off
	v_mad_u64_u32 v[12:13], s[4:5], s8, v82, v[12:13]
	v_mul_f64 v[0:1], v[0:1], s[0:1]
	v_mul_f64 v[2:3], v[2:3], s[0:1]
	v_add_u32_e32 v13, s2, v13
	global_store_dwordx4 v[12:13], v[0:3], off
	ds_read_b128 v[0:3], v209 offset:9680
	s_waitcnt vmcnt(11) lgkmcnt(1)
	v_mul_f64 v[8:9], v[6:7], v[60:61]
	v_fmac_f64_e32 v[8:9], v[4:5], v[58:59]
	v_mul_f64 v[4:5], v[4:5], v[60:61]
	v_fma_f64 v[4:5], v[58:59], v[6:7], -v[4:5]
	v_mul_f64 v[10:11], v[4:5], s[0:1]
	v_mad_u64_u32 v[12:13], s[4:5], s8, v82, v[12:13]
	s_waitcnt vmcnt(10) lgkmcnt(0)
	v_mul_f64 v[4:5], v[2:3], v[64:65]
	v_mul_f64 v[8:9], v[8:9], s[0:1]
	v_add_u32_e32 v13, s2, v13
	v_fmac_f64_e32 v[4:5], v[0:1], v[62:63]
	v_mul_f64 v[0:1], v[0:1], v[64:65]
	global_store_dwordx4 v[12:13], v[8:11], off
	v_fma_f64 v[0:1], v[62:63], v[2:3], -v[0:1]
	v_mad_u64_u32 v[12:13], s[4:5], s8, v82, v[12:13]
	v_mul_f64 v[4:5], v[4:5], s[0:1]
	v_mul_f64 v[6:7], v[0:1], s[0:1]
	v_add_u32_e32 v13, s2, v13
	global_store_dwordx4 v[12:13], v[4:7], off
	global_load_dwordx4 v[0:3], v[72:73], off offset:2368
	ds_read_b128 v[4:7], v209 offset:10560
	s_waitcnt vmcnt(0) lgkmcnt(0)
	v_mul_f64 v[8:9], v[6:7], v[2:3]
	v_mul_f64 v[2:3], v[4:5], v[2:3]
	v_fmac_f64_e32 v[8:9], v[4:5], v[0:1]
	v_fma_f64 v[0:1], v[0:1], v[6:7], -v[2:3]
	v_mul_f64 v[8:9], v[8:9], s[0:1]
	v_mul_f64 v[10:11], v[0:1], s[0:1]
	v_mad_u64_u32 v[0:1], s[0:1], s8, v82, v[12:13]
	v_add_u32_e32 v1, s2, v1
	global_store_dwordx4 v[0:1], v[8:11], off
.LBB0_23:
	s_endpgm
	.section	.rodata,"a",@progbits
	.p2align	6, 0x0
	.amdhsa_kernel bluestein_single_back_len715_dim1_dp_op_CI_CI
		.amdhsa_group_segment_fixed_size 34320
		.amdhsa_private_segment_fixed_size 0
		.amdhsa_kernarg_size 104
		.amdhsa_user_sgpr_count 2
		.amdhsa_user_sgpr_dispatch_ptr 0
		.amdhsa_user_sgpr_queue_ptr 0
		.amdhsa_user_sgpr_kernarg_segment_ptr 1
		.amdhsa_user_sgpr_dispatch_id 0
		.amdhsa_user_sgpr_kernarg_preload_length 0
		.amdhsa_user_sgpr_kernarg_preload_offset 0
		.amdhsa_user_sgpr_private_segment_size 0
		.amdhsa_uses_dynamic_stack 0
		.amdhsa_enable_private_segment 0
		.amdhsa_system_sgpr_workgroup_id_x 1
		.amdhsa_system_sgpr_workgroup_id_y 0
		.amdhsa_system_sgpr_workgroup_id_z 0
		.amdhsa_system_sgpr_workgroup_info 0
		.amdhsa_system_vgpr_workitem_id 0
		.amdhsa_next_free_vgpr 356
		.amdhsa_next_free_sgpr 50
		.amdhsa_accum_offset 256
		.amdhsa_reserve_vcc 1
		.amdhsa_float_round_mode_32 0
		.amdhsa_float_round_mode_16_64 0
		.amdhsa_float_denorm_mode_32 3
		.amdhsa_float_denorm_mode_16_64 3
		.amdhsa_dx10_clamp 1
		.amdhsa_ieee_mode 1
		.amdhsa_fp16_overflow 0
		.amdhsa_tg_split 0
		.amdhsa_exception_fp_ieee_invalid_op 0
		.amdhsa_exception_fp_denorm_src 0
		.amdhsa_exception_fp_ieee_div_zero 0
		.amdhsa_exception_fp_ieee_overflow 0
		.amdhsa_exception_fp_ieee_underflow 0
		.amdhsa_exception_fp_ieee_inexact 0
		.amdhsa_exception_int_div_zero 0
	.end_amdhsa_kernel
	.text
.Lfunc_end0:
	.size	bluestein_single_back_len715_dim1_dp_op_CI_CI, .Lfunc_end0-bluestein_single_back_len715_dim1_dp_op_CI_CI
                                        ; -- End function
	.section	.AMDGPU.csdata,"",@progbits
; Kernel info:
; codeLenInByte = 22912
; NumSgprs: 56
; NumVgprs: 256
; NumAgprs: 100
; TotalNumVgprs: 356
; ScratchSize: 0
; MemoryBound: 0
; FloatMode: 240
; IeeeMode: 1
; LDSByteSize: 34320 bytes/workgroup (compile time only)
; SGPRBlocks: 6
; VGPRBlocks: 44
; NumSGPRsForWavesPerEU: 56
; NumVGPRsForWavesPerEU: 356
; AccumOffset: 256
; Occupancy: 1
; WaveLimiterHint : 1
; COMPUTE_PGM_RSRC2:SCRATCH_EN: 0
; COMPUTE_PGM_RSRC2:USER_SGPR: 2
; COMPUTE_PGM_RSRC2:TRAP_HANDLER: 0
; COMPUTE_PGM_RSRC2:TGID_X_EN: 1
; COMPUTE_PGM_RSRC2:TGID_Y_EN: 0
; COMPUTE_PGM_RSRC2:TGID_Z_EN: 0
; COMPUTE_PGM_RSRC2:TIDIG_COMP_CNT: 0
; COMPUTE_PGM_RSRC3_GFX90A:ACCUM_OFFSET: 63
; COMPUTE_PGM_RSRC3_GFX90A:TG_SPLIT: 0
	.text
	.p2alignl 6, 3212836864
	.fill 256, 4, 3212836864
	.type	__hip_cuid_ac85a2597d9f965,@object ; @__hip_cuid_ac85a2597d9f965
	.section	.bss,"aw",@nobits
	.globl	__hip_cuid_ac85a2597d9f965
__hip_cuid_ac85a2597d9f965:
	.byte	0                               ; 0x0
	.size	__hip_cuid_ac85a2597d9f965, 1

	.ident	"AMD clang version 19.0.0git (https://github.com/RadeonOpenCompute/llvm-project roc-6.4.0 25133 c7fe45cf4b819c5991fe208aaa96edf142730f1d)"
	.section	".note.GNU-stack","",@progbits
	.addrsig
	.addrsig_sym __hip_cuid_ac85a2597d9f965
	.amdgpu_metadata
---
amdhsa.kernels:
  - .agpr_count:     100
    .args:
      - .actual_access:  read_only
        .address_space:  global
        .offset:         0
        .size:           8
        .value_kind:     global_buffer
      - .actual_access:  read_only
        .address_space:  global
        .offset:         8
        .size:           8
        .value_kind:     global_buffer
      - .actual_access:  read_only
        .address_space:  global
        .offset:         16
        .size:           8
        .value_kind:     global_buffer
      - .actual_access:  read_only
        .address_space:  global
        .offset:         24
        .size:           8
        .value_kind:     global_buffer
      - .actual_access:  read_only
        .address_space:  global
        .offset:         32
        .size:           8
        .value_kind:     global_buffer
      - .offset:         40
        .size:           8
        .value_kind:     by_value
      - .address_space:  global
        .offset:         48
        .size:           8
        .value_kind:     global_buffer
      - .address_space:  global
        .offset:         56
        .size:           8
        .value_kind:     global_buffer
      - .address_space:  global
        .offset:         64
        .size:           8
        .value_kind:     global_buffer
      - .address_space:  global
        .offset:         72
        .size:           8
        .value_kind:     global_buffer
      - .offset:         80
        .size:           4
        .value_kind:     by_value
      - .address_space:  global
        .offset:         88
        .size:           8
        .value_kind:     global_buffer
      - .address_space:  global
        .offset:         96
        .size:           8
        .value_kind:     global_buffer
    .group_segment_fixed_size: 34320
    .kernarg_segment_align: 8
    .kernarg_segment_size: 104
    .language:       OpenCL C
    .language_version:
      - 2
      - 0
    .max_flat_workgroup_size: 195
    .name:           bluestein_single_back_len715_dim1_dp_op_CI_CI
    .private_segment_fixed_size: 0
    .sgpr_count:     56
    .sgpr_spill_count: 0
    .symbol:         bluestein_single_back_len715_dim1_dp_op_CI_CI.kd
    .uniform_work_group_size: 1
    .uses_dynamic_stack: false
    .vgpr_count:     356
    .vgpr_spill_count: 0
    .wavefront_size: 64
amdhsa.target:   amdgcn-amd-amdhsa--gfx950
amdhsa.version:
  - 1
  - 2
...

	.end_amdgpu_metadata
